;; amdgpu-corpus repo=ROCm/rocFFT kind=compiled arch=gfx1201 opt=O3
	.text
	.amdgcn_target "amdgcn-amd-amdhsa--gfx1201"
	.amdhsa_code_object_version 6
	.protected	fft_rtc_fwd_len182_factors_13_2_7_wgs_52_tpt_13_dp_op_CI_CI_unitstride_sbrr_R2C_dirReg ; -- Begin function fft_rtc_fwd_len182_factors_13_2_7_wgs_52_tpt_13_dp_op_CI_CI_unitstride_sbrr_R2C_dirReg
	.globl	fft_rtc_fwd_len182_factors_13_2_7_wgs_52_tpt_13_dp_op_CI_CI_unitstride_sbrr_R2C_dirReg
	.p2align	8
	.type	fft_rtc_fwd_len182_factors_13_2_7_wgs_52_tpt_13_dp_op_CI_CI_unitstride_sbrr_R2C_dirReg,@function
fft_rtc_fwd_len182_factors_13_2_7_wgs_52_tpt_13_dp_op_CI_CI_unitstride_sbrr_R2C_dirReg: ; @fft_rtc_fwd_len182_factors_13_2_7_wgs_52_tpt_13_dp_op_CI_CI_unitstride_sbrr_R2C_dirReg
; %bb.0:
	s_clause 0x2
	s_load_b128 s[8:11], s[0:1], 0x0
	s_load_b128 s[4:7], s[0:1], 0x58
	;; [unrolled: 1-line block ×3, first 2 shown]
	v_mul_u32_u24_e32 v1, 0x13b2, v0
	v_mov_b32_e32 v3, 0
	s_delay_alu instid0(VALU_DEP_2) | instskip(SKIP_2) | instid1(VALU_DEP_4)
	v_lshrrev_b32_e32 v7, 16, v1
	v_mov_b32_e32 v1, 0
	v_mov_b32_e32 v2, 0
	;; [unrolled: 1-line block ×3, first 2 shown]
	s_delay_alu instid0(VALU_DEP_4) | instskip(SKIP_2) | instid1(VALU_DEP_1)
	v_lshl_add_u32 v5, ttmp9, 2, v7
	s_wait_kmcnt 0x0
	v_cmp_lt_u64_e64 s2, s[10:11], 2
	s_and_b32 vcc_lo, exec_lo, s2
	s_cbranch_vccnz .LBB0_8
; %bb.1:
	s_load_b64 s[2:3], s[0:1], 0x10
	v_mov_b32_e32 v1, 0
	v_mov_b32_e32 v2, 0
	s_add_nc_u64 s[16:17], s[14:15], 8
	s_add_nc_u64 s[18:19], s[12:13], 8
	s_mov_b64 s[20:21], 1
	s_delay_alu instid0(VALU_DEP_1)
	v_dual_mov_b32 v77, v2 :: v_dual_mov_b32 v76, v1
	s_wait_kmcnt 0x0
	s_add_nc_u64 s[22:23], s[2:3], 8
	s_mov_b32 s3, 0
.LBB0_2:                                ; =>This Inner Loop Header: Depth=1
	s_load_b64 s[24:25], s[22:23], 0x0
                                        ; implicit-def: $vgpr80_vgpr81
	s_mov_b32 s2, exec_lo
	s_wait_kmcnt 0x0
	v_or_b32_e32 v4, s25, v6
	s_delay_alu instid0(VALU_DEP_1)
	v_cmpx_ne_u64_e32 0, v[3:4]
	s_wait_alu 0xfffe
	s_xor_b32 s26, exec_lo, s2
	s_cbranch_execz .LBB0_4
; %bb.3:                                ;   in Loop: Header=BB0_2 Depth=1
	s_cvt_f32_u32 s2, s24
	s_cvt_f32_u32 s27, s25
	s_sub_nc_u64 s[30:31], 0, s[24:25]
	s_wait_alu 0xfffe
	s_delay_alu instid0(SALU_CYCLE_1) | instskip(SKIP_1) | instid1(SALU_CYCLE_2)
	s_fmamk_f32 s2, s27, 0x4f800000, s2
	s_wait_alu 0xfffe
	v_s_rcp_f32 s2, s2
	s_delay_alu instid0(TRANS32_DEP_1) | instskip(SKIP_1) | instid1(SALU_CYCLE_2)
	s_mul_f32 s2, s2, 0x5f7ffffc
	s_wait_alu 0xfffe
	s_mul_f32 s27, s2, 0x2f800000
	s_wait_alu 0xfffe
	s_delay_alu instid0(SALU_CYCLE_2) | instskip(SKIP_1) | instid1(SALU_CYCLE_2)
	s_trunc_f32 s27, s27
	s_wait_alu 0xfffe
	s_fmamk_f32 s2, s27, 0xcf800000, s2
	s_cvt_u32_f32 s29, s27
	s_wait_alu 0xfffe
	s_delay_alu instid0(SALU_CYCLE_1) | instskip(SKIP_1) | instid1(SALU_CYCLE_2)
	s_cvt_u32_f32 s28, s2
	s_wait_alu 0xfffe
	s_mul_u64 s[34:35], s[30:31], s[28:29]
	s_wait_alu 0xfffe
	s_mul_hi_u32 s37, s28, s35
	s_mul_i32 s36, s28, s35
	s_mul_hi_u32 s2, s28, s34
	s_mul_i32 s33, s29, s34
	s_wait_alu 0xfffe
	s_add_nc_u64 s[36:37], s[2:3], s[36:37]
	s_mul_hi_u32 s27, s29, s34
	s_mul_hi_u32 s38, s29, s35
	s_add_co_u32 s2, s36, s33
	s_wait_alu 0xfffe
	s_add_co_ci_u32 s2, s37, s27
	s_mul_i32 s34, s29, s35
	s_add_co_ci_u32 s35, s38, 0
	s_wait_alu 0xfffe
	s_add_nc_u64 s[34:35], s[2:3], s[34:35]
	s_wait_alu 0xfffe
	v_add_co_u32 v4, s2, s28, s34
	s_delay_alu instid0(VALU_DEP_1) | instskip(SKIP_1) | instid1(VALU_DEP_1)
	s_cmp_lg_u32 s2, 0
	s_add_co_ci_u32 s29, s29, s35
	v_readfirstlane_b32 s28, v4
	s_wait_alu 0xfffe
	s_delay_alu instid0(VALU_DEP_1)
	s_mul_u64 s[30:31], s[30:31], s[28:29]
	s_wait_alu 0xfffe
	s_mul_hi_u32 s35, s28, s31
	s_mul_i32 s34, s28, s31
	s_mul_hi_u32 s2, s28, s30
	s_mul_i32 s33, s29, s30
	s_wait_alu 0xfffe
	s_add_nc_u64 s[34:35], s[2:3], s[34:35]
	s_mul_hi_u32 s27, s29, s30
	s_mul_hi_u32 s28, s29, s31
	s_wait_alu 0xfffe
	s_add_co_u32 s2, s34, s33
	s_add_co_ci_u32 s2, s35, s27
	s_mul_i32 s30, s29, s31
	s_add_co_ci_u32 s31, s28, 0
	s_wait_alu 0xfffe
	s_add_nc_u64 s[30:31], s[2:3], s[30:31]
	s_wait_alu 0xfffe
	v_add_co_u32 v4, s2, v4, s30
	s_delay_alu instid0(VALU_DEP_1) | instskip(SKIP_1) | instid1(VALU_DEP_1)
	s_cmp_lg_u32 s2, 0
	s_add_co_ci_u32 s2, s29, s31
	v_mul_hi_u32 v14, v5, v4
	s_wait_alu 0xfffe
	v_mad_co_u64_u32 v[8:9], null, v5, s2, 0
	v_mad_co_u64_u32 v[10:11], null, v6, v4, 0
	;; [unrolled: 1-line block ×3, first 2 shown]
	s_delay_alu instid0(VALU_DEP_3) | instskip(SKIP_1) | instid1(VALU_DEP_4)
	v_add_co_u32 v4, vcc_lo, v14, v8
	s_wait_alu 0xfffd
	v_add_co_ci_u32_e32 v8, vcc_lo, 0, v9, vcc_lo
	s_delay_alu instid0(VALU_DEP_2) | instskip(SKIP_1) | instid1(VALU_DEP_2)
	v_add_co_u32 v4, vcc_lo, v4, v10
	s_wait_alu 0xfffd
	v_add_co_ci_u32_e32 v4, vcc_lo, v8, v11, vcc_lo
	s_wait_alu 0xfffd
	v_add_co_ci_u32_e32 v8, vcc_lo, 0, v13, vcc_lo
	s_delay_alu instid0(VALU_DEP_2) | instskip(SKIP_1) | instid1(VALU_DEP_2)
	v_add_co_u32 v4, vcc_lo, v4, v12
	s_wait_alu 0xfffd
	v_add_co_ci_u32_e32 v10, vcc_lo, 0, v8, vcc_lo
	s_delay_alu instid0(VALU_DEP_2) | instskip(SKIP_1) | instid1(VALU_DEP_3)
	v_mul_lo_u32 v11, s25, v4
	v_mad_co_u64_u32 v[8:9], null, s24, v4, 0
	v_mul_lo_u32 v12, s24, v10
	s_delay_alu instid0(VALU_DEP_2) | instskip(NEXT) | instid1(VALU_DEP_2)
	v_sub_co_u32 v8, vcc_lo, v5, v8
	v_add3_u32 v9, v9, v12, v11
	s_delay_alu instid0(VALU_DEP_1) | instskip(SKIP_1) | instid1(VALU_DEP_1)
	v_sub_nc_u32_e32 v11, v6, v9
	s_wait_alu 0xfffd
	v_subrev_co_ci_u32_e64 v11, s2, s25, v11, vcc_lo
	v_add_co_u32 v12, s2, v4, 2
	s_wait_alu 0xf1ff
	v_add_co_ci_u32_e64 v13, s2, 0, v10, s2
	v_sub_co_u32 v14, s2, v8, s24
	v_sub_co_ci_u32_e32 v9, vcc_lo, v6, v9, vcc_lo
	s_wait_alu 0xf1ff
	v_subrev_co_ci_u32_e64 v11, s2, 0, v11, s2
	s_delay_alu instid0(VALU_DEP_3) | instskip(NEXT) | instid1(VALU_DEP_3)
	v_cmp_le_u32_e32 vcc_lo, s24, v14
	v_cmp_eq_u32_e64 s2, s25, v9
	s_wait_alu 0xfffd
	v_cndmask_b32_e64 v14, 0, -1, vcc_lo
	v_cmp_le_u32_e32 vcc_lo, s25, v11
	s_wait_alu 0xfffd
	v_cndmask_b32_e64 v15, 0, -1, vcc_lo
	v_cmp_le_u32_e32 vcc_lo, s24, v8
	;; [unrolled: 3-line block ×3, first 2 shown]
	s_wait_alu 0xfffd
	v_cndmask_b32_e64 v16, 0, -1, vcc_lo
	v_cmp_eq_u32_e32 vcc_lo, s25, v11
	s_wait_alu 0xf1ff
	s_delay_alu instid0(VALU_DEP_2)
	v_cndmask_b32_e64 v8, v16, v8, s2
	s_wait_alu 0xfffd
	v_cndmask_b32_e32 v11, v15, v14, vcc_lo
	v_add_co_u32 v14, vcc_lo, v4, 1
	s_wait_alu 0xfffd
	v_add_co_ci_u32_e32 v15, vcc_lo, 0, v10, vcc_lo
	s_delay_alu instid0(VALU_DEP_3) | instskip(SKIP_2) | instid1(VALU_DEP_3)
	v_cmp_ne_u32_e32 vcc_lo, 0, v11
	s_wait_alu 0xfffd
	v_cndmask_b32_e32 v11, v14, v12, vcc_lo
	v_cndmask_b32_e32 v9, v15, v13, vcc_lo
	v_cmp_ne_u32_e32 vcc_lo, 0, v8
	s_wait_alu 0xfffd
	s_delay_alu instid0(VALU_DEP_2)
	v_dual_cndmask_b32 v80, v4, v11 :: v_dual_cndmask_b32 v81, v10, v9
.LBB0_4:                                ;   in Loop: Header=BB0_2 Depth=1
	s_wait_alu 0xfffe
	s_and_not1_saveexec_b32 s2, s26
	s_cbranch_execz .LBB0_6
; %bb.5:                                ;   in Loop: Header=BB0_2 Depth=1
	v_cvt_f32_u32_e32 v4, s24
	s_sub_co_i32 s26, 0, s24
	v_mov_b32_e32 v81, v3
	s_delay_alu instid0(VALU_DEP_2) | instskip(NEXT) | instid1(TRANS32_DEP_1)
	v_rcp_iflag_f32_e32 v4, v4
	v_mul_f32_e32 v4, 0x4f7ffffe, v4
	s_delay_alu instid0(VALU_DEP_1) | instskip(SKIP_1) | instid1(VALU_DEP_1)
	v_cvt_u32_f32_e32 v4, v4
	s_wait_alu 0xfffe
	v_mul_lo_u32 v8, s26, v4
	s_delay_alu instid0(VALU_DEP_1) | instskip(NEXT) | instid1(VALU_DEP_1)
	v_mul_hi_u32 v8, v4, v8
	v_add_nc_u32_e32 v4, v4, v8
	s_delay_alu instid0(VALU_DEP_1) | instskip(NEXT) | instid1(VALU_DEP_1)
	v_mul_hi_u32 v4, v5, v4
	v_mul_lo_u32 v8, v4, s24
	s_delay_alu instid0(VALU_DEP_1) | instskip(NEXT) | instid1(VALU_DEP_1)
	v_sub_nc_u32_e32 v8, v5, v8
	v_subrev_nc_u32_e32 v10, s24, v8
	v_cmp_le_u32_e32 vcc_lo, s24, v8
	s_wait_alu 0xfffd
	s_delay_alu instid0(VALU_DEP_2) | instskip(NEXT) | instid1(VALU_DEP_1)
	v_dual_cndmask_b32 v8, v8, v10 :: v_dual_add_nc_u32 v9, 1, v4
	v_cndmask_b32_e32 v4, v4, v9, vcc_lo
	s_delay_alu instid0(VALU_DEP_2) | instskip(NEXT) | instid1(VALU_DEP_2)
	v_cmp_le_u32_e32 vcc_lo, s24, v8
	v_add_nc_u32_e32 v9, 1, v4
	s_wait_alu 0xfffd
	s_delay_alu instid0(VALU_DEP_1)
	v_cndmask_b32_e32 v80, v4, v9, vcc_lo
.LBB0_6:                                ;   in Loop: Header=BB0_2 Depth=1
	s_wait_alu 0xfffe
	s_or_b32 exec_lo, exec_lo, s2
	v_mul_lo_u32 v4, v81, s24
	s_delay_alu instid0(VALU_DEP_2)
	v_mul_lo_u32 v10, v80, s25
	s_load_b64 s[26:27], s[18:19], 0x0
	v_mad_co_u64_u32 v[8:9], null, v80, s24, 0
	s_load_b64 s[24:25], s[16:17], 0x0
	s_add_nc_u64 s[20:21], s[20:21], 1
	s_add_nc_u64 s[16:17], s[16:17], 8
	s_wait_alu 0xfffe
	v_cmp_ge_u64_e64 s2, s[20:21], s[10:11]
	s_add_nc_u64 s[18:19], s[18:19], 8
	s_add_nc_u64 s[22:23], s[22:23], 8
	v_add3_u32 v4, v9, v10, v4
	v_sub_co_u32 v5, vcc_lo, v5, v8
	s_wait_alu 0xfffd
	s_delay_alu instid0(VALU_DEP_2) | instskip(SKIP_2) | instid1(VALU_DEP_1)
	v_sub_co_ci_u32_e32 v4, vcc_lo, v6, v4, vcc_lo
	s_and_b32 vcc_lo, exec_lo, s2
	s_wait_kmcnt 0x0
	v_mul_lo_u32 v6, s26, v4
	v_mul_lo_u32 v8, s27, v5
	v_mad_co_u64_u32 v[1:2], null, s26, v5, v[1:2]
	v_mul_lo_u32 v4, s24, v4
	v_mul_lo_u32 v9, s25, v5
	v_mad_co_u64_u32 v[76:77], null, s24, v5, v[76:77]
	s_delay_alu instid0(VALU_DEP_4) | instskip(NEXT) | instid1(VALU_DEP_2)
	v_add3_u32 v2, v8, v2, v6
	v_add3_u32 v77, v9, v77, v4
	s_wait_alu 0xfffe
	s_cbranch_vccnz .LBB0_9
; %bb.7:                                ;   in Loop: Header=BB0_2 Depth=1
	v_dual_mov_b32 v5, v80 :: v_dual_mov_b32 v6, v81
	s_branch .LBB0_2
.LBB0_8:
	v_dual_mov_b32 v77, v2 :: v_dual_mov_b32 v76, v1
	v_dual_mov_b32 v81, v6 :: v_dual_mov_b32 v80, v5
.LBB0_9:
	s_load_b64 s[0:1], s[0:1], 0x28
	v_mul_hi_u32 v3, 0x13b13b14, v0
	v_and_b32_e32 v4, 3, v7
	s_lshl_b64 s[10:11], s[10:11], 3
                                        ; implicit-def: $vgpr78
	s_wait_kmcnt 0x0
	v_cmp_gt_u64_e32 vcc_lo, s[0:1], v[80:81]
	v_cmp_le_u64_e64 s0, s[0:1], v[80:81]
	s_delay_alu instid0(VALU_DEP_1)
	s_and_saveexec_b32 s1, s0
	s_wait_alu 0xfffe
	s_xor_b32 s0, exec_lo, s1
; %bb.10:
	v_mul_u32_u24_e32 v1, 13, v3
                                        ; implicit-def: $vgpr3
	s_delay_alu instid0(VALU_DEP_1)
	v_sub_nc_u32_e32 v78, v0, v1
                                        ; implicit-def: $vgpr0
                                        ; implicit-def: $vgpr1_vgpr2
; %bb.11:
	s_wait_alu 0xfffe
	s_or_saveexec_b32 s1, s0
	v_mul_u32_u24_e32 v4, 0xb7, v4
	s_add_nc_u64 s[2:3], s[14:15], s[10:11]
	s_delay_alu instid0(VALU_DEP_1)
	v_lshlrev_b32_e32 v90, 4, v4
	s_wait_alu 0xfffe
	s_xor_b32 exec_lo, exec_lo, s1
	s_cbranch_execz .LBB0_13
; %bb.12:
	s_add_nc_u64 s[10:11], s[12:13], s[10:11]
	v_lshlrev_b64_e32 v[1:2], 4, v[1:2]
	s_load_b64 s[10:11], s[10:11], 0x0
	s_wait_kmcnt 0x0
	v_mul_lo_u32 v6, s11, v80
	v_mul_lo_u32 v7, s10, v81
	v_mad_co_u64_u32 v[4:5], null, s10, v80, 0
	s_delay_alu instid0(VALU_DEP_1) | instskip(SKIP_1) | instid1(VALU_DEP_2)
	v_add3_u32 v5, v5, v7, v6
	v_mul_u32_u24_e32 v6, 13, v3
	v_lshlrev_b64_e32 v[3:4], 4, v[4:5]
	s_delay_alu instid0(VALU_DEP_2) | instskip(NEXT) | instid1(VALU_DEP_1)
	v_sub_nc_u32_e32 v78, v0, v6
	v_lshlrev_b32_e32 v56, 4, v78
	s_delay_alu instid0(VALU_DEP_3) | instskip(SKIP_1) | instid1(VALU_DEP_4)
	v_add_co_u32 v0, s0, s4, v3
	s_wait_alu 0xf1ff
	v_add_co_ci_u32_e64 v3, s0, s5, v4, s0
	s_delay_alu instid0(VALU_DEP_2) | instskip(SKIP_1) | instid1(VALU_DEP_2)
	v_add_co_u32 v0, s0, v0, v1
	s_wait_alu 0xf1ff
	v_add_co_ci_u32_e64 v1, s0, v3, v2, s0
	s_delay_alu instid0(VALU_DEP_2) | instskip(SKIP_1) | instid1(VALU_DEP_2)
	v_add_co_u32 v52, s0, v0, v56
	s_wait_alu 0xf1ff
	v_add_co_ci_u32_e64 v53, s0, 0, v1, s0
	s_clause 0xd
	global_load_b128 v[0:3], v[52:53], off
	global_load_b128 v[4:7], v[52:53], off offset:208
	global_load_b128 v[8:11], v[52:53], off offset:416
	;; [unrolled: 1-line block ×13, first 2 shown]
	v_add3_u32 v56, 0, v90, v56
	s_wait_loadcnt 0xd
	ds_store_b128 v56, v[0:3]
	s_wait_loadcnt 0xc
	ds_store_b128 v56, v[4:7] offset:208
	s_wait_loadcnt 0xb
	ds_store_b128 v56, v[8:11] offset:416
	;; [unrolled: 2-line block ×13, first 2 shown]
.LBB0_13:
	s_or_b32 exec_lo, exec_lo, s1
	v_lshlrev_b32_e32 v1, 4, v78
	v_add_nc_u32_e32 v255, 0, v90
	s_load_b64 s[2:3], s[2:3], 0x0
	global_wb scope:SCOPE_SE
	s_wait_dscnt 0x0
	s_mov_b32 s10, 0x4267c47c
	v_add_nc_u32_e32 v0, 0, v1
	v_add_nc_u32_e32 v88, v255, v1
	scratch_store_b32 off, v1, off          ; 4-byte Folded Spill
	s_wait_storecnt 0x0
	s_wait_kmcnt 0x0
	s_barrier_signal -1
	s_barrier_wait -1
	v_add_nc_u32_e32 v89, v0, v90
	global_inv scope:SCOPE_SE
	s_mov_b32 s22, 0x42a4c3d2
	s_mov_b32 s20, 0x66966769
	;; [unrolled: 1-line block ×3, first 2 shown]
	ds_load_b128 v[56:59], v89 offset:224
	ds_load_b128 v[52:55], v88
	ds_load_b128 v[0:3], v89 offset:208
	ds_load_b128 v[4:7], v89 offset:432
	s_mov_b32 s12, 0x24c2f84
	s_mov_b32 s4, 0x4bc48dbf
	;; [unrolled: 1-line block ×19, first 2 shown]
	s_wait_dscnt 0x0
	scratch_store_b128 off, v[4:7], off offset:20 ; 16-byte Folded Spill
	v_add_f64_e32 v[4:5], v[52:53], v[56:57]
	v_add_f64_e32 v[6:7], v[54:55], v[58:59]
	ds_load_b128 v[64:67], v89 offset:448
	ds_load_b128 v[8:11], v89 offset:656
	s_mov_b32 s17, 0xbfef11f4
	s_mov_b32 s35, 0x3fe5384d
	;; [unrolled: 1-line block ×6, first 2 shown]
	s_wait_alu 0xfffe
	s_mov_b32 s38, s20
	s_mov_b32 s36, s10
	;; [unrolled: 1-line block ×7, first 2 shown]
	v_cmp_ne_u32_e64 s0, 0, v78
	s_mov_b32 s33, exec_lo
	s_wait_dscnt 0x0
	scratch_store_b128 off, v[8:11], off offset:36 ; 16-byte Folded Spill
	v_add_f64_e32 v[16:17], v[4:5], v[64:65]
	v_add_f64_e32 v[18:19], v[6:7], v[66:67]
	ds_load_b128 v[68:71], v89 offset:672
	ds_load_b128 v[4:7], v89 offset:880
	;; [unrolled: 1-line block ×8, first 2 shown]
	s_wait_dscnt 0x6
	scratch_store_b128 off, v[4:7], off offset:4 ; 16-byte Folded Spill
	ds_load_b128 v[99:102], v89 offset:1792
	ds_load_b128 v[4:7], v89 offset:2896
	ds_load_b128 v[103:106], v89 offset:2016
	s_wait_dscnt 0x5
	v_add_f64_e64 v[127:128], v[70:71], -v[97:98]
	s_wait_dscnt 0x4
	v_add_f64_e64 v[115:116], v[58:59], -v[62:63]
	v_add_f64_e64 v[117:118], v[56:57], -v[60:61]
	s_wait_dscnt 0x3
	v_add_f64_e64 v[123:124], v[66:67], -v[93:94]
	v_add_f64_e64 v[125:126], v[64:65], -v[91:92]
	;; [unrolled: 1-line block ×3, first 2 shown]
	v_add_f64_e32 v[56:57], v[56:57], v[60:61]
	v_add_f64_e32 v[58:59], v[58:59], v[62:63]
	;; [unrolled: 1-line block ×8, first 2 shown]
	s_wait_dscnt 0x2
	v_add_f64_e32 v[131:132], v[82:83], v[99:100]
	s_wait_dscnt 0x1
	scratch_store_b128 off, v[4:7], off offset:52 ; 16-byte Folded Spill
	ds_load_b128 v[107:110], v89 offset:1344
	ds_load_b128 v[111:114], v89 offset:1568
	v_add_f64_e32 v[133:134], v[84:85], v[101:102]
	v_add_f64_e64 v[137:138], v[82:83], -v[99:100]
	v_add_f64_e64 v[139:140], v[84:85], -v[101:102]
	s_wait_dscnt 0x2
	v_add_f64_e64 v[135:136], v[74:75], -v[105:106]
	v_add_f64_e32 v[145:146], v[72:73], v[103:104]
	ds_load_b128 v[48:51], v89 offset:1328
	ds_load_b128 v[44:47], v89 offset:1552
	;; [unrolled: 1-line block ×5, first 2 shown]
	v_mul_f64_e32 v[167:168], s[20:21], v[127:128]
	s_wait_dscnt 0x5
	v_add_f64_e64 v[141:142], v[107:108], -v[111:112]
	v_add_f64_e64 v[143:144], v[109:110], -v[113:114]
	v_mul_f64_e32 v[147:148], s[10:11], v[115:116]
	v_mul_f64_e32 v[149:150], s[22:23], v[115:116]
	;; [unrolled: 1-line block ×9, first 2 shown]
	v_add_f64_e32 v[20:21], v[16:17], v[72:73]
	v_add_f64_e32 v[22:23], v[18:19], v[74:75]
	v_mul_f64_e32 v[163:164], s[28:29], v[117:118]
	v_mul_f64_e32 v[165:166], s[22:23], v[125:126]
	;; [unrolled: 1-line block ×22, first 2 shown]
	v_add_f64_e32 v[74:75], v[74:75], v[105:106]
	v_add_f64_e64 v[72:73], v[72:73], -v[103:104]
	v_mul_f64_e32 v[179:180], s[34:35], v[135:136]
	v_mul_f64_e32 v[189:190], s[36:37], v[135:136]
	;; [unrolled: 1-line block ×3, first 2 shown]
	v_fma_f64 v[209:210], v[56:57], s[14:15], -v[147:148]
	v_fma_f64 v[147:148], v[56:57], s[14:15], v[147:148]
	v_fma_f64 v[211:212], v[56:57], s[26:27], -v[149:150]
	v_fma_f64 v[149:150], v[56:57], s[26:27], v[149:150]
	;; [unrolled: 2-line block ×4, first 2 shown]
	v_fma_f64 v[159:160], v[58:59], s[26:27], -v[159:160]
	v_add_f64_e32 v[119:120], v[20:21], v[82:83]
	v_add_f64_e32 v[121:122], v[22:23], v[84:85]
	;; [unrolled: 1-line block ×4, first 2 shown]
	v_fma_f64 v[219:220], v[58:59], s[24:25], v[161:162]
	v_fma_f64 v[161:162], v[58:59], s[24:25], -v[161:162]
	v_fma_f64 v[221:222], v[58:59], s[30:31], v[163:164]
	v_fma_f64 v[163:164], v[58:59], s[30:31], -v[163:164]
	;; [unrolled: 2-line block ×5, first 2 shown]
	v_fma_f64 v[239:240], v[70:71], s[16:17], v[177:178]
	v_fma_f64 v[171:172], v[64:65], s[30:31], v[171:172]
	v_fma_f64 v[173:174], v[66:67], s[30:31], -v[173:174]
	v_fma_f64 v[175:176], v[68:69], s[16:17], v[175:176]
	v_fma_f64 v[177:178], v[70:71], s[16:17], -v[177:178]
	v_fma_f64 v[241:242], v[64:65], s[16:17], -v[181:182]
	v_fma_f64 v[243:244], v[66:67], s[16:17], v[183:184]
	v_fma_f64 v[245:246], v[68:69], s[30:31], -v[185:186]
	v_fma_f64 v[247:248], v[70:71], s[30:31], v[187:188]
	v_fma_f64 v[181:182], v[64:65], s[16:17], v[181:182]
	v_fma_f64 v[183:184], v[66:67], s[16:17], -v[183:184]
	v_fma_f64 v[185:186], v[68:69], s[30:31], v[185:186]
	v_fma_f64 v[249:250], v[68:69], s[14:15], -v[195:196]
	v_fma_f64 v[251:252], v[70:71], s[14:15], v[197:198]
	v_fma_f64 v[195:196], v[68:69], s[14:15], v[195:196]
	v_fma_f64 v[197:198], v[70:71], s[14:15], -v[197:198]
	v_fma_f64 v[253:254], v[64:65], s[24:25], -v[201:202]
	v_add_f64_e32 v[209:210], v[52:53], v[209:210]
	v_add_f64_e32 v[147:148], v[52:53], v[147:148]
	;; [unrolled: 1-line block ×9, first 2 shown]
	v_mul_f64_e32 v[119:120], s[12:13], v[117:118]
	v_mul_f64_e32 v[117:118], s[4:5], v[117:118]
	;; [unrolled: 1-line block ×4, first 2 shown]
	v_add_f64_e32 v[219:220], v[54:55], v[219:220]
	v_add_f64_e32 v[151:152], v[52:53], v[151:152]
	;; [unrolled: 1-line block ×6, first 2 shown]
	v_mul_f64_e32 v[86:87], s[44:45], v[135:136]
	s_wait_dscnt 0x0
	scratch_store_b128 off, v[4:7], off offset:68 ; 16-byte Folded Spill
	v_fma_f64 v[4:5], v[145:146], s[18:19], -v[179:180]
	v_fma_f64 v[6:7], v[145:146], s[18:19], v[179:180]
	v_fma_f64 v[179:180], v[145:146], s[14:15], -v[189:190]
	v_fma_f64 v[189:190], v[145:146], s[14:15], v[189:190]
	;; [unrolled: 2-line block ×3, first 2 shown]
	ds_load_b128 v[36:39], v89 offset:2000
	ds_load_b128 v[32:35], v89 offset:2224
	global_wb scope:SCOPE_SE
	s_wait_storecnt_dscnt 0x0
	s_barrier_signal -1
	s_barrier_wait -1
	global_inv scope:SCOPE_SE
	v_add_f64_e32 v[149:150], v[171:172], v[149:150]
	v_mul_f64_e32 v[171:172], s[34:35], v[72:73]
	v_add_f64_e32 v[159:160], v[173:174], v[159:160]
	v_add_f64_e32 v[107:108], v[107:108], v[111:112]
	;; [unrolled: 1-line block ×3, first 2 shown]
	v_fma_f64 v[111:112], v[56:57], s[30:31], v[153:154]
	v_fma_f64 v[113:114], v[56:57], s[18:19], -v[155:156]
	v_fma_f64 v[153:154], v[56:57], s[18:19], v[155:156]
	v_fma_f64 v[155:156], v[56:57], s[16:17], -v[115:116]
	v_fma_f64 v[56:57], v[56:57], s[16:17], v[115:116]
	v_fma_f64 v[115:116], v[58:59], s[14:15], v[157:158]
	v_fma_f64 v[157:158], v[58:59], s[14:15], -v[157:158]
	v_fma_f64 v[223:224], v[58:59], s[18:19], v[119:120]
	v_fma_f64 v[119:120], v[58:59], s[18:19], -v[119:120]
	;; [unrolled: 2-line block ×3, first 2 shown]
	v_fma_f64 v[117:118], v[64:65], s[26:27], -v[121:122]
	v_fma_f64 v[12:13], v[145:146], s[26:27], -v[86:87]
	v_fma_f64 v[14:15], v[145:146], s[26:27], v[86:87]
	v_mul_f64_e32 v[173:174], s[36:37], v[72:73]
	v_add_f64_e32 v[151:152], v[181:182], v[151:152]
	v_add_f64_e32 v[161:162], v[183:184], v[161:162]
	v_mul_f64_e32 v[183:184], s[12:13], v[137:138]
	v_add_f64_e32 v[149:150], v[175:176], v[149:150]
	v_mul_f64_e32 v[175:176], s[40:41], v[139:140]
	v_add_f64_e32 v[159:160], v[177:178], v[159:160]
	v_add_f64_e32 v[99:100], v[107:108], v[99:100]
	;; [unrolled: 1-line block ×3, first 2 shown]
	v_fma_f64 v[107:108], v[70:71], s[30:31], -v[187:188]
	v_fma_f64 v[109:110], v[64:65], s[18:19], -v[191:192]
	v_fma_f64 v[187:188], v[66:67], s[18:19], v[193:194]
	v_fma_f64 v[191:192], v[64:65], s[18:19], v[191:192]
	v_fma_f64 v[193:194], v[66:67], s[18:19], -v[193:194]
	v_add_f64_e32 v[115:116], v[54:55], v[115:116]
	v_add_f64_e32 v[157:158], v[54:55], v[157:158]
	;; [unrolled: 1-line block ×11, first 2 shown]
	v_fma_f64 v[56:57], v[66:67], s[24:25], v[203:204]
	v_fma_f64 v[58:59], v[68:69], s[26:27], -v[205:206]
	v_add_f64_e32 v[117:118], v[117:118], v[209:210]
	v_add_f64_e32 v[209:210], v[235:236], v[217:218]
	v_mul_f64_e32 v[217:218], s[40:41], v[72:73]
	v_fma_f64 v[235:236], v[74:75], s[14:15], v[173:174]
	v_fma_f64 v[173:174], v[74:75], s[14:15], -v[173:174]
	v_mul_f64_e32 v[177:178], s[40:41], v[137:138]
	v_add_f64_e32 v[151:152], v[185:186], v[151:152]
	v_mul_f64_e32 v[185:186], s[36:37], v[139:140]
	v_add_f64_e32 v[6:7], v[6:7], v[149:150]
	v_add_f64_e32 v[99:100], v[99:100], v[103:104]
	;; [unrolled: 1-line block ×3, first 2 shown]
	v_fma_f64 v[103:104], v[70:71], s[26:27], v[207:208]
	v_fma_f64 v[105:106], v[64:65], s[24:25], v[201:202]
	v_fma_f64 v[201:202], v[66:67], s[24:25], -v[203:204]
	v_fma_f64 v[203:204], v[68:69], s[26:27], v[205:206]
	v_fma_f64 v[205:206], v[70:71], s[26:27], -v[207:208]
	v_fma_f64 v[207:208], v[64:65], s[14:15], -v[123:124]
	v_fma_f64 v[123:124], v[64:65], s[14:15], v[123:124]
	v_fma_f64 v[64:65], v[64:65], s[26:27], v[121:122]
	;; [unrolled: 1-line block ×3, first 2 shown]
	v_fma_f64 v[125:126], v[66:67], s[14:15], -v[125:126]
	v_fma_f64 v[66:67], v[66:67], s[26:27], -v[165:166]
	;; [unrolled: 1-line block ×3, first 2 shown]
	v_fma_f64 v[127:128], v[68:69], s[18:19], v[127:128]
	v_fma_f64 v[68:69], v[68:69], s[24:25], v[167:168]
	;; [unrolled: 1-line block ×3, first 2 shown]
	v_fma_f64 v[129:130], v[70:71], s[18:19], -v[129:130]
	v_fma_f64 v[70:71], v[70:71], s[24:25], -v[169:170]
	v_mul_f64_e32 v[169:170], s[40:41], v[135:136]
	v_mul_f64_e32 v[135:136], s[28:29], v[135:136]
	v_add_f64_e32 v[115:116], v[227:228], v[115:116]
	v_mul_f64_e32 v[227:228], s[44:45], v[72:73]
	v_add_f64_e32 v[109:110], v[109:110], v[215:216]
	v_add_f64_e32 v[111:112], v[191:192], v[111:112]
	;; [unrolled: 1-line block ×7, first 2 shown]
	v_mul_f64_e32 v[193:194], s[22:23], v[139:140]
	v_add_f64_e32 v[209:210], v[239:240], v[209:210]
	v_add_f64_e32 v[107:108], v[107:108], v[161:162]
	v_mul_f64_e32 v[161:162], s[36:37], v[137:138]
	v_mul_f64_e32 v[187:188], s[4:5], v[143:144]
	;; [unrolled: 1-line block ×6, first 2 shown]
	v_add_f64_e32 v[95:96], v[99:100], v[95:96]
	v_add_f64_e32 v[97:98], v[101:102], v[97:98]
	;; [unrolled: 1-line block ×4, first 2 shown]
	v_mul_f64_e32 v[153:154], s[12:13], v[139:140]
	v_mul_f64_e32 v[201:202], s[22:23], v[137:138]
	v_add_f64_e32 v[155:156], v[207:208], v[155:156]
	v_add_f64_e32 v[52:53], v[123:124], v[52:53]
	;; [unrolled: 1-line block ×6, first 2 shown]
	v_mul_f64_e32 v[123:124], s[38:39], v[139:140]
	v_mul_f64_e32 v[125:126], s[38:39], v[137:138]
	;; [unrolled: 1-line block ×6, first 2 shown]
	v_fma_f64 v[199:200], v[145:146], s[16:17], -v[169:170]
	v_fma_f64 v[169:170], v[145:146], s[16:17], v[169:170]
	v_fma_f64 v[86:87], v[145:146], s[30:31], -v[135:136]
	v_fma_f64 v[135:136], v[145:146], s[30:31], v[135:136]
	v_add_f64_e32 v[145:146], v[233:234], v[211:212]
	v_mul_f64_e32 v[211:212], s[20:21], v[72:73]
	v_mul_f64_e32 v[72:73], s[28:29], v[72:73]
	v_fma_f64 v[233:234], v[74:75], s[18:19], v[171:172]
	v_fma_f64 v[171:172], v[74:75], s[18:19], -v[171:172]
	v_fma_f64 v[20:21], v[74:75], s[26:27], v[227:228]
	v_fma_f64 v[22:23], v[74:75], s[26:27], -v[227:228]
	v_add_f64_e32 v[109:110], v[249:250], v[109:110]
	v_add_f64_e32 v[111:112], v[195:196], v[111:112]
	;; [unrolled: 1-line block ×7, first 2 shown]
	v_mul_f64_e32 v[207:208], s[12:13], v[143:144]
	v_mul_f64_e32 v[225:226], s[28:29], v[141:142]
	v_mul_f64_e32 v[141:142], s[38:39], v[141:142]
	v_fma_f64 v[99:100], v[131:132], s[16:17], v[175:176]
	v_add_f64_e32 v[105:106], v[203:204], v[105:106]
	v_add_f64_e32 v[119:120], v[205:206], v[119:120]
	v_fma_f64 v[195:196], v[131:132], s[18:19], -v[153:154]
	v_add_f64_e32 v[151:152], v[189:190], v[151:152]
	v_add_f64_e32 v[155:156], v[165:166], v[155:156]
	;; [unrolled: 1-line block ×7, first 2 shown]
	v_fma_f64 v[203:204], v[131:132], s[24:25], -v[123:124]
	v_fma_f64 v[205:206], v[133:134], s[24:25], v[125:126]
	v_fma_f64 v[123:124], v[131:132], s[24:25], v[123:124]
	v_fma_f64 v[125:126], v[133:134], s[24:25], -v[125:126]
	v_fma_f64 v[127:128], v[131:132], s[26:27], -v[193:194]
	v_fma_f64 v[129:130], v[133:134], s[26:27], v[201:202]
	v_fma_f64 v[193:194], v[131:132], s[26:27], v[193:194]
	v_fma_f64 v[201:202], v[133:134], s[26:27], -v[201:202]
	v_fma_f64 v[68:69], v[131:132], s[16:17], -v[175:176]
	v_add_f64_e32 v[86:87], v[86:87], v[117:118]
	v_add_f64_e32 v[145:146], v[237:238], v[145:146]
	v_fma_f64 v[16:17], v[74:75], s[24:25], v[211:212]
	v_fma_f64 v[18:19], v[74:75], s[24:25], -v[211:212]
	v_fma_f64 v[211:212], v[74:75], s[16:17], v[217:218]
	v_fma_f64 v[217:218], v[74:75], s[16:17], -v[217:218]
	;; [unrolled: 2-line block ×3, first 2 shown]
	v_add_f64_e32 v[74:75], v[241:242], v[213:214]
	v_add_f64_e32 v[213:214], v[243:244], v[219:220]
	v_mul_f64_e32 v[219:220], s[44:45], v[143:144]
	v_mul_f64_e32 v[143:144], s[38:39], v[143:144]
	v_add_f64_e32 v[117:118], v[233:234], v[209:210]
	v_add_f64_e32 v[107:108], v[173:174], v[107:108]
	v_fma_f64 v[173:174], v[131:132], s[14:15], v[185:186]
	v_add_f64_e32 v[8:9], v[8:9], v[109:110]
	v_fma_f64 v[109:110], v[131:132], s[30:31], -v[139:140]
	v_fma_f64 v[175:176], v[133:134], s[30:31], v[137:138]
	v_add_f64_e32 v[10:11], v[10:11], v[111:112]
	v_fma_f64 v[111:112], v[131:132], s[30:31], v[139:140]
	v_fma_f64 v[137:138], v[133:134], s[30:31], -v[137:138]
	v_add_f64_e32 v[105:106], v[169:170], v[105:106]
	v_fma_f64 v[197:198], v[133:134], s[18:19], v[183:184]
	v_add_f64_e32 v[12:13], v[12:13], v[155:156]
	v_add_f64_e32 v[14:15], v[14:15], v[52:53]
	v_fma_f64 v[101:102], v[133:134], s[16:17], -v[177:178]
	v_fma_f64 v[70:71], v[133:134], s[16:17], v[177:178]
	v_add_f64_e32 v[22:23], v[22:23], v[54:55]
	v_add_f64_e32 v[58:59], v[199:200], v[58:59]
	;; [unrolled: 1-line block ×4, first 2 shown]
	v_fma_f64 v[113:114], v[82:83], s[16:17], -v[187:188]
	v_fma_f64 v[165:166], v[82:83], s[14:15], -v[147:148]
	v_fma_f64 v[167:168], v[84:85], s[14:15], v[157:158]
	v_add_f64_e32 v[6:7], v[123:124], v[6:7]
	v_add_f64_e32 v[91:92], v[95:96], v[91:92]
	v_add_f64_e32 v[93:94], v[97:98], v[93:94]
	v_fma_f64 v[95:96], v[82:83], s[14:15], v[147:148]
	v_add_f64_e32 v[64:65], v[195:196], v[86:87]
	v_add_f64_e32 v[4:5], v[4:5], v[145:146]
	;; [unrolled: 1-line block ×3, first 2 shown]
	v_fma_f64 v[171:172], v[133:134], s[14:15], v[161:162]
	v_fma_f64 v[161:162], v[133:134], s[14:15], -v[161:162]
	v_add_f64_e32 v[119:120], v[217:218], v[119:120]
	v_add_f64_e32 v[115:116], v[227:228], v[115:116]
	;; [unrolled: 1-line block ×6, first 2 shown]
	v_fma_f64 v[159:160], v[131:132], s[14:15], -v[185:186]
	v_add_f64_e32 v[56:57], v[211:212], v[56:57]
	v_fma_f64 v[131:132], v[131:132], s[18:19], v[153:154]
	v_fma_f64 v[133:134], v[133:134], s[18:19], -v[183:184]
	v_add_f64_e32 v[54:55], v[72:73], v[66:67]
	v_add_f64_e32 v[72:73], v[205:206], v[117:118]
	;; [unrolled: 1-line block ×3, first 2 shown]
	v_fma_f64 v[151:152], v[84:85], s[24:25], v[141:142]
	v_fma_f64 v[103:104], v[84:85], s[16:17], v[191:192]
	v_fma_f64 v[117:118], v[82:83], s[18:19], -v[207:208]
	v_add_f64_e32 v[105:106], v[173:174], v[105:106]
	v_fma_f64 v[121:122], v[84:85], s[18:19], v[215:216]
	v_add_f64_e32 v[12:13], v[109:110], v[12:13]
	v_fma_f64 v[109:110], v[82:83], s[24:25], -v[143:144]
	v_add_f64_e32 v[14:15], v[111:112], v[14:15]
	v_fma_f64 v[111:112], v[82:83], s[24:25], v[143:144]
	v_add_f64_e32 v[22:23], v[137:138], v[22:23]
	v_fma_f64 v[137:138], v[84:85], s[24:25], -v[141:142]
	v_fma_f64 v[141:142], v[82:83], s[30:31], v[223:224]
	v_fma_f64 v[143:144], v[84:85], s[30:31], -v[225:226]
	v_add_f64_e32 v[10:11], v[99:100], v[10:11]
	v_fma_f64 v[139:140], v[82:83], s[26:27], v[219:220]
	v_add_f64_e32 v[8:9], v[68:69], v[8:9]
	v_fma_f64 v[135:136], v[84:85], s[26:27], v[221:222]
	v_fma_f64 v[97:98], v[84:85], s[14:15], -v[157:158]
	v_fma_f64 v[147:148], v[82:83], s[30:31], -v[223:224]
	v_fma_f64 v[153:154], v[82:83], s[16:17], v[187:188]
	v_fma_f64 v[155:156], v[84:85], s[16:17], -v[191:192]
	v_add_f64_e32 v[4:5], v[203:204], v[4:5]
	v_add_f64_e32 v[86:87], v[125:126], v[145:146]
	;; [unrolled: 1-line block ×3, first 2 shown]
	v_fma_f64 v[107:108], v[82:83], s[18:19], v[207:208]
	v_add_f64_e32 v[119:120], v[161:162], v[119:120]
	v_add_f64_e32 v[66:67], v[197:198], v[115:116]
	;; [unrolled: 1-line block ×5, first 2 shown]
	v_fma_f64 v[145:146], v[84:85], s[26:27], -v[221:222]
	v_add_f64_e32 v[16:17], v[70:71], v[16:17]
	v_add_f64_e32 v[99:100], v[159:160], v[58:59]
	;; [unrolled: 1-line block ×13, first 2 shown]
	v_mad_u32_u24 v4, 0xd0, v78, v255
	v_add_f64_e32 v[72:73], v[107:108], v[123:124]
	v_add_f64_e32 v[107:108], v[141:142], v[105:106]
	v_add_f64_e32 v[109:110], v[143:144], v[119:120]
	v_add_f64_e32 v[58:59], v[103:104], v[66:67]
	v_add_f64_e32 v[74:75], v[127:128], v[74:75]
	v_add_f64_e32 v[115:116], v[129:130], v[149:150]
	v_fma_f64 v[127:128], v[84:85], s[18:19], -v[215:216]
	v_fma_f64 v[129:130], v[82:83], s[26:27], -v[219:220]
	v_fma_f64 v[149:150], v[84:85], s[30:31], v[225:226]
	v_add_f64_e32 v[103:104], v[139:140], v[10:11]
	v_add_f64_e32 v[105:106], v[145:146], v[18:19]
	;; [unrolled: 1-line block ×15, first 2 shown]
	ds_store_b128 v4, v[60:63] offset:32
	ds_store_b128 v4, v[68:71] offset:48
	;; [unrolled: 1-line block ×4, first 2 shown]
	ds_store_b128 v4, v[52:55]
	ds_store_b128 v4, v[56:59] offset:16
	ds_store_b128 v4, v[95:98] offset:96
	;; [unrolled: 1-line block ×8, first 2 shown]
	v_cmpx_eq_u32_e32 0, v78
	s_cbranch_execz .LBB0_15
; %bb.14:
	s_clause 0x4
	scratch_load_b128 v[91:94], off, off offset:20 th:TH_LOAD_LU
	scratch_load_b128 v[141:144], off, off offset:4 th:TH_LOAD_LU
	;; [unrolled: 1-line block ×5, first 2 shown]
	v_add_f64_e32 v[8:9], v[30:31], v[34:35]
	v_add_f64_e64 v[66:67], v[28:29], -v[32:33]
	v_add_f64_e64 v[18:19], v[30:31], -v[34:35]
	v_add_f64_e32 v[60:61], v[50:51], v[38:39]
	v_add_f64_e64 v[64:65], v[50:51], -v[38:39]
	v_add_f64_e32 v[74:75], v[28:29], v[32:33]
	;; [unrolled: 2-line block ×3, first 2 shown]
	v_add_f64_e32 v[58:59], v[46:47], v[42:43]
	v_add_f64_e64 v[10:11], v[44:45], -v[40:41]
	v_add_f64_e32 v[52:53], v[44:45], v[40:41]
	v_add_f64_e64 v[62:63], v[46:47], -v[42:43]
	v_mul_f64_e32 v[107:108], s[16:17], v[8:9]
	v_mul_f64_e32 v[121:122], s[24:25], v[8:9]
	;; [unrolled: 1-line block ×17, first 2 shown]
	v_fma_f64 v[199:200], v[66:67], s[4:5], v[107:108]
	v_fma_f64 v[213:214], v[66:67], s[38:39], v[121:122]
	;; [unrolled: 1-line block ×6, first 2 shown]
	v_fma_f64 v[129:130], v[74:75], s[24:25], -v[129:130]
	s_wait_loadcnt 0x4
	v_add_f64_e32 v[4:5], v[2:3], v[93:94]
	v_add_f64_e32 v[6:7], v[0:1], v[91:92]
	s_wait_loadcnt 0x1
	v_add_f64_e32 v[14:15], v[86:87], v[151:152]
	s_wait_loadcnt 0x0
	v_add_f64_e32 v[16:17], v[93:94], v[253:254]
	v_add_f64_e64 v[22:23], v[93:94], -v[253:254]
	v_mul_f64_e32 v[93:94], s[26:27], v[8:9]
	v_add_f64_e64 v[72:73], v[91:92], -v[251:252]
	v_add_f64_e32 v[91:92], v[91:92], v[251:252]
	v_add_f64_e32 v[12:13], v[143:144], v[26:27]
	v_add_f64_e64 v[70:71], v[84:85], -v[149:150]
	v_add_f64_e64 v[68:69], v[141:142], -v[24:25]
	;; [unrolled: 1-line block ×3, first 2 shown]
	v_add_f64_e32 v[82:83], v[141:142], v[24:25]
	v_add_f64_e32 v[4:5], v[4:5], v[86:87]
	;; [unrolled: 1-line block ×3, first 2 shown]
	v_mul_f64_e32 v[189:190], s[30:31], v[14:15]
	v_mul_f64_e32 v[155:156], s[26:27], v[16:17]
	;; [unrolled: 1-line block ×8, first 2 shown]
	v_fma_f64 v[8:9], v[66:67], s[22:23], v[93:94]
	v_mul_f64_e32 v[249:250], s[16:17], v[12:13]
	v_mul_f64_e32 v[99:100], s[16:17], v[16:17]
	v_add_f64_e64 v[86:87], v[86:87], -v[151:152]
	v_mul_f64_e32 v[97:98], s[14:15], v[14:15]
	v_mul_f64_e32 v[113:114], s[18:19], v[16:17]
	;; [unrolled: 1-line block ×4, first 2 shown]
	v_add_f64_e32 v[84:85], v[84:85], v[149:150]
	v_mul_f64_e32 v[95:96], s[18:19], v[12:13]
	v_mul_f64_e32 v[109:110], s[26:27], v[12:13]
	;; [unrolled: 1-line block ×14, first 2 shown]
	v_add_f64_e32 v[4:5], v[4:5], v[143:144]
	v_add_f64_e32 v[6:7], v[6:7], v[141:142]
	v_mul_f64_e32 v[141:142], s[24:25], v[16:17]
	v_fma_f64 v[227:228], v[72:73], s[44:45], v[155:156]
	v_fma_f64 v[197:198], v[91:92], s[16:17], v[105:106]
	v_fma_f64 v[105:106], v[91:92], s[16:17], -v[105:106]
	v_fma_f64 v[211:212], v[91:92], s[18:19], v[119:120]
	v_fma_f64 v[119:120], v[91:92], s[18:19], -v[119:120]
	v_fma_f64 v[225:226], v[91:92], s[30:31], v[133:134]
	v_fma_f64 v[229:230], v[91:92], s[26:27], v[161:162]
	scratch_store_b64 off, v[8:9], off offset:4 ; 8-byte Folded Spill
	v_fma_f64 v[8:9], v[66:67], s[44:45], v[93:94]
	v_fma_f64 v[155:156], v[72:73], s[22:23], v[155:156]
	v_fma_f64 v[161:162], v[91:92], s[26:27], -v[161:162]
	v_fma_f64 v[233:234], v[91:92], s[14:15], v[22:23]
	v_fma_f64 v[22:23], v[91:92], s[14:15], -v[22:23]
	v_mul_f64_e32 v[16:17], s[14:15], v[16:17]
	v_fma_f64 v[195:196], v[72:73], s[40:41], v[99:100]
	v_mul_f64_e32 v[163:164], s[36:37], v[86:87]
	v_mul_f64_e32 v[165:166], s[38:39], v[86:87]
	;; [unrolled: 1-line block ×6, first 2 shown]
	v_fma_f64 v[193:194], v[70:71], s[10:11], v[97:98]
	v_fma_f64 v[99:100], v[72:73], s[4:5], v[99:100]
	;; [unrolled: 1-line block ×7, first 2 shown]
	v_mul_f64_e32 v[143:144], s[36:37], v[18:19]
	v_mul_f64_e32 v[18:19], s[28:29], v[18:19]
	v_fma_f64 v[191:192], v[68:69], s[34:35], v[95:96]
	v_fma_f64 v[95:96], v[68:69], s[12:13], v[95:96]
	v_fma_f64 v[97:98], v[70:71], s[36:37], v[97:98]
	v_fma_f64 v[201:202], v[68:69], s[44:45], v[109:110]
	v_fma_f64 v[203:204], v[70:71], s[20:21], v[111:112]
	v_add_f64_e32 v[4:5], v[4:5], v[30:31]
	v_add_f64_e32 v[6:7], v[6:7], v[28:29]
	v_fma_f64 v[28:29], v[74:75], s[26:27], v[101:102]
	v_fma_f64 v[93:94], v[66:67], s[40:41], v[107:108]
	v_add_f64_e32 v[197:198], v[0:1], v[197:198]
	v_add_f64_e32 v[105:106], v[0:1], v[105:106]
	;; [unrolled: 1-line block ×6, first 2 shown]
	v_fma_f64 v[109:110], v[68:69], s[22:23], v[109:110]
	scratch_store_b64 off, v[8:9], off offset:20 ; 8-byte Folded Spill
	v_fma_f64 v[8:9], v[74:75], s[26:27], -v[101:102]
	v_add_f64_e32 v[155:156], v[2:3], v[155:156]
	v_add_f64_e32 v[161:162], v[0:1], v[161:162]
	;; [unrolled: 1-line block ×3, first 2 shown]
	v_fma_f64 v[231:232], v[72:73], s[36:37], v[16:17]
	v_fma_f64 v[16:17], v[72:73], s[10:11], v[16:17]
	v_add_f64_e32 v[195:196], v[2:3], v[195:196]
	v_fma_f64 v[111:112], v[70:71], s[38:39], v[111:112]
	v_fma_f64 v[101:102], v[74:75], s[16:17], -v[115:116]
	v_fma_f64 v[215:216], v[68:69], s[10:11], v[123:124]
	v_fma_f64 v[217:218], v[70:71], s[12:13], v[125:126]
	;; [unrolled: 1-line block ×9, first 2 shown]
	v_add_f64_e32 v[99:100], v[2:3], v[99:100]
	v_add_f64_e32 v[205:206], v[2:3], v[205:206]
	;; [unrolled: 1-line block ×6, first 2 shown]
	v_fma_f64 v[30:31], v[82:83], s[18:19], v[103:104]
	v_fma_f64 v[103:104], v[82:83], s[18:19], -v[103:104]
	v_add_f64_e32 v[4:5], v[4:5], v[50:51]
	v_fma_f64 v[50:51], v[91:92], s[30:31], -v[133:134]
	v_fma_f64 v[133:134], v[91:92], s[24:25], v[147:148]
	v_fma_f64 v[147:148], v[91:92], s[24:25], -v[147:148]
	v_add_f64_e32 v[6:7], v[6:7], v[48:49]
	v_fma_f64 v[48:49], v[82:83], s[14:15], -v[131:132]
	v_fma_f64 v[131:132], v[72:73], s[38:39], v[141:142]
	v_fma_f64 v[141:142], v[72:73], s[20:21], v[141:142]
	;; [unrolled: 1-line block ×6, first 2 shown]
	scratch_store_b64 off, v[8:9], off offset:36 ; 8-byte Folded Spill
	v_fma_f64 v[8:9], v[68:69], s[4:5], v[249:250]
	v_fma_f64 v[66:67], v[74:75], s[18:19], v[157:158]
	;; [unrolled: 1-line block ×5, first 2 shown]
	v_fma_f64 v[163:164], v[84:85], s[14:15], -v[163:164]
	v_add_f64_e32 v[231:232], v[2:3], v[231:232]
	v_fma_f64 v[153:154], v[74:75], s[18:19], -v[157:158]
	v_fma_f64 v[157:158], v[84:85], s[18:19], -v[167:168]
	v_add_f64_e32 v[193:194], v[193:194], v[195:196]
	v_fma_f64 v[237:238], v[74:75], s[14:15], v[143:144]
	v_fma_f64 v[139:140], v[70:71], s[4:5], v[139:140]
	v_fma_f64 v[143:144], v[74:75], s[14:15], -v[143:144]
	v_fma_f64 v[245:246], v[70:71], s[42:43], v[189:190]
	v_mul_f64_e32 v[195:196], s[16:17], v[60:61]
	v_fma_f64 v[209:210], v[82:83], s[26:27], v[117:118]
	v_fma_f64 v[117:118], v[82:83], s[26:27], -v[117:118]
	v_add_f64_e32 v[97:98], v[97:98], v[99:100]
	v_add_f64_e32 v[203:204], v[203:204], v[205:206]
	v_mul_f64_e32 v[205:206], s[26:27], v[60:61]
	v_add_f64_e32 v[111:112], v[111:112], v[113:114]
	v_add_f64_e32 v[217:218], v[217:218], v[219:220]
	v_mul_f64_e32 v[219:220], s[24:25], v[60:61]
	v_add_f64_e32 v[125:126], v[125:126], v[127:128]
	v_mul_f64_e32 v[60:61], s[18:19], v[60:61]
	v_add_f64_e32 v[4:5], v[4:5], v[46:47]
	v_add_f64_e32 v[50:51], v[0:1], v[50:51]
	;; [unrolled: 1-line block ×5, first 2 shown]
	v_fma_f64 v[22:23], v[70:71], s[28:29], v[189:190]
	v_add_f64_e32 v[6:7], v[6:7], v[44:45]
	v_fma_f64 v[44:45], v[84:85], s[24:25], v[165:166]
	v_fma_f64 v[46:47], v[84:85], s[24:25], -v[165:166]
	v_fma_f64 v[165:166], v[84:85], s[18:19], v[167:168]
	v_add_f64_e32 v[131:132], v[2:3], v[131:132]
	v_add_f64_e32 v[141:142], v[2:3], v[141:142]
	;; [unrolled: 1-line block ×3, first 2 shown]
	v_fma_f64 v[167:168], v[70:71], s[44:45], v[14:15]
	v_fma_f64 v[14:15], v[70:71], s[22:23], v[14:15]
	;; [unrolled: 1-line block ×3, first 2 shown]
	v_fma_f64 v[18:19], v[74:75], s[30:31], -v[18:19]
	v_fma_f64 v[74:75], v[82:83], s[24:25], v[20:21]
	v_add_f64_e32 v[68:69], v[68:69], v[197:198]
	v_add_f64_e32 v[105:106], v[163:164], v[105:106]
	v_fma_f64 v[239:240], v[82:83], s[30:31], v[145:146]
	v_fma_f64 v[145:146], v[82:83], s[30:31], -v[145:146]
	v_add_f64_e32 v[191:192], v[191:192], v[193:194]
	v_fma_f64 v[16:17], v[82:83], s[16:17], v[159:160]
	v_fma_f64 v[159:160], v[82:83], s[16:17], -v[159:160]
	v_fma_f64 v[20:21], v[82:83], s[24:25], -v[20:21]
	v_fma_f64 v[82:83], v[84:85], s[16:17], v[169:170]
	v_fma_f64 v[169:170], v[84:85], s[16:17], -v[169:170]
	v_add_f64_e32 v[227:228], v[245:246], v[227:228]
	v_mul_f64_e32 v[113:114], s[22:23], v[64:65]
	v_mul_f64_e32 v[127:128], s[38:39], v[64:65]
	;; [unrolled: 1-line block ×5, first 2 shown]
	v_fma_f64 v[245:246], v[56:57], s[14:15], v[187:188]
	v_mul_f64_e32 v[197:198], s[44:45], v[62:63]
	v_add_f64_e32 v[4:5], v[4:5], v[42:43]
	v_fma_f64 v[42:43], v[84:85], s[30:31], -v[171:172]
	v_add_f64_e32 v[50:51], v[157:158], v[50:51]
	v_fma_f64 v[157:158], v[10:11], s[20:21], v[173:174]
	v_fma_f64 v[173:174], v[10:11], s[38:39], v[173:174]
	v_add_f64_e32 v[22:23], v[22:23], v[155:156]
	v_add_f64_e32 v[6:7], v[6:7], v[40:41]
	v_fma_f64 v[40:41], v[84:85], s[30:31], v[171:172]
	v_fma_f64 v[171:172], v[84:85], s[26:27], v[86:87]
	v_fma_f64 v[84:85], v[84:85], s[26:27], -v[86:87]
	v_add_f64_e32 v[131:132], v[235:236], v[131:132]
	v_fma_f64 v[235:236], v[54:55], s[42:43], v[175:176]
	v_fma_f64 v[175:176], v[54:55], s[28:29], v[175:176]
	v_add_f64_e32 v[46:47], v[46:47], v[119:120]
	v_add_f64_e32 v[2:3], v[14:15], v[2:3]
	;; [unrolled: 1-line block ×10, first 2 shown]
	v_fma_f64 v[125:126], v[54:55], s[38:39], v[219:220]
	v_add_f64_e32 v[167:168], v[167:168], v[231:232]
	v_add_f64_e32 v[97:98], v[201:202], v[203:204]
	;; [unrolled: 1-line block ×5, first 2 shown]
	v_mul_f64_e32 v[86:87], s[26:27], v[58:59]
	v_mul_f64_e32 v[119:120], s[14:15], v[58:59]
	;; [unrolled: 1-line block ×5, first 2 shown]
	v_fma_f64 v[169:170], v[56:57], s[30:31], v[179:180]
	v_fma_f64 v[179:180], v[56:57], s[30:31], -v[179:180]
	v_mul_f64_e32 v[62:63], s[4:5], v[62:63]
	v_fma_f64 v[155:156], v[10:11], s[42:43], v[181:182]
	v_add_f64_e32 v[4:5], v[4:5], v[38:39]
	v_add_f64_e32 v[42:43], v[42:43], v[161:162]
	v_fma_f64 v[161:162], v[54:55], s[10:11], v[183:184]
	v_fma_f64 v[38:39], v[54:55], s[36:37], v[183:184]
	;; [unrolled: 1-line block ×3, first 2 shown]
	v_add_f64_e32 v[22:23], v[8:9], v[22:23]
	scratch_load_b64 v[8:9], off, off offset:4 th:TH_LOAD_LU ; 8-byte Folded Reload
	v_add_f64_e32 v[6:7], v[6:7], v[36:37]
	v_add_f64_e32 v[14:15], v[171:172], v[233:234]
	v_fma_f64 v[195:196], v[54:55], s[40:41], v[195:196]
	v_add_f64_e32 v[48:49], v[48:49], v[50:51]
	v_add_f64_e32 v[50:51], v[91:92], v[131:132]
	v_fma_f64 v[131:132], v[54:55], s[34:35], v[60:61]
	v_add_f64_e32 v[40:41], v[40:41], v[229:230]
	v_add_f64_e32 v[2:3], v[12:13], v[2:3]
	;; [unrolled: 1-line block ×10, first 2 shown]
	v_fma_f64 v[171:172], v[56:57], s[14:15], -v[187:188]
	v_fma_f64 v[187:188], v[56:57], s[16:17], v[99:100]
	v_fma_f64 v[99:100], v[56:57], s[16:17], -v[99:100]
	v_add_f64_e32 v[82:83], v[239:240], v[82:83]
	v_add_f64_e32 v[123:124], v[145:146], v[147:148]
	v_fma_f64 v[137:138], v[56:57], s[18:19], v[64:65]
	v_fma_f64 v[36:37], v[10:11], s[28:29], v[181:182]
	v_fma_f64 v[181:182], v[10:11], s[22:23], v[86:87]
	v_fma_f64 v[86:87], v[10:11], s[44:45], v[86:87]
	v_fma_f64 v[141:142], v[52:53], s[24:25], v[177:178]
	v_fma_f64 v[177:178], v[52:53], s[24:25], -v[177:178]
	v_fma_f64 v[133:134], v[52:53], s[30:31], v[185:186]
	v_fma_f64 v[84:85], v[52:53], s[30:31], -v[185:186]
	v_fma_f64 v[185:186], v[52:53], s[26:27], v[197:198]
	v_fma_f64 v[197:198], v[52:53], s[26:27], -v[197:198]
	v_add_f64_e32 v[4:5], v[4:5], v[34:35]
	v_add_f64_e32 v[42:43], v[159:160], v[42:43]
	v_fma_f64 v[34:35], v[56:57], s[26:27], -v[113:114]
	v_add_f64_e32 v[22:23], v[72:73], v[22:23]
	v_add_f64_e32 v[6:7], v[6:7], v[32:33]
	;; [unrolled: 1-line block ×3, first 2 shown]
	v_fma_f64 v[14:15], v[54:55], s[44:45], v[205:206]
	v_fma_f64 v[32:33], v[54:55], s[22:23], v[205:206]
	v_fma_f64 v[74:75], v[54:55], s[20:21], v[219:220]
	v_fma_f64 v[54:55], v[54:55], s[12:13], v[60:61]
	v_add_f64_e32 v[16:17], v[16:17], v[40:41]
	v_add_f64_e32 v[40:41], v[249:250], v[167:168]
	;; [unrolled: 1-line block ×3, first 2 shown]
	v_fma_f64 v[20:21], v[56:57], s[26:27], v[113:114]
	v_fma_f64 v[113:114], v[56:57], s[24:25], v[127:128]
	v_fma_f64 v[127:128], v[56:57], s[24:25], -v[127:128]
	v_add_f64_e32 v[103:104], v[135:136], v[117:118]
	v_fma_f64 v[56:57], v[56:57], s[18:19], -v[64:65]
	v_add_f64_e32 v[46:47], v[101:102], v[46:47]
	v_add_f64_e32 v[101:102], v[121:122], v[111:112]
	;; [unrolled: 1-line block ×8, first 2 shown]
	v_fma_f64 v[91:92], v[10:11], s[10:11], v[119:120]
	v_fma_f64 v[111:112], v[52:53], s[14:15], -v[225:226]
	v_fma_f64 v[115:116], v[10:11], s[40:41], v[58:59]
	v_fma_f64 v[58:59], v[10:11], s[4:5], v[58:59]
	v_add_f64_e32 v[38:39], v[38:39], v[93:94]
	v_fma_f64 v[107:108], v[52:53], s[14:15], v[225:226]
	v_fma_f64 v[117:118], v[52:53], s[16:17], v[62:63]
	v_add_f64_e32 v[4:5], v[4:5], v[26:27]
	v_add_f64_e32 v[42:43], v[153:154], v[42:43]
	;; [unrolled: 1-line block ×3, first 2 shown]
	v_fma_f64 v[24:25], v[10:11], s[12:13], v[163:164]
	v_add_f64_e32 v[16:17], v[66:67], v[16:17]
	v_add_f64_e32 v[40:41], v[247:248], v[40:41]
	;; [unrolled: 1-line block ×3, first 2 shown]
	v_fma_f64 v[18:19], v[10:11], s[34:35], v[163:164]
	v_fma_f64 v[66:67], v[52:53], s[18:19], v[211:212]
	v_add_f64_e32 v[32:33], v[32:33], v[103:104]
	v_add_f64_e32 v[46:47], v[171:172], v[46:47]
	;; [unrolled: 1-line block ×17, first 2 shown]
	s_wait_loadcnt 0x0
	v_add_f64_e32 v[60:61], v[8:9], v[191:192]
	scratch_load_b64 v[8:9], off, off offset:20 th:TH_LOAD_LU ; 8-byte Folded Reload
	s_wait_loadcnt 0x0
	v_add_f64_e32 v[30:31], v[8:9], v[68:69]
	scratch_load_b64 v[8:9], off, off offset:36 th:TH_LOAD_LU ; 8-byte Folded Reload
	v_add_f64_e32 v[68:69], v[199:200], v[97:98]
	v_add_f64_e32 v[97:98], v[221:222], v[109:110]
	v_fma_f64 v[109:110], v[10:11], s[36:37], v[119:120]
	v_add_f64_e32 v[10:11], v[235:236], v[60:61]
	v_add_f64_e32 v[26:27], v[175:176], v[30:31]
	;; [unrolled: 1-line block ×4, first 2 shown]
	s_delay_alu instid0(VALU_DEP_4) | instskip(NEXT) | instid1(VALU_DEP_3)
	v_add_f64_e32 v[2:3], v[157:158], v[10:11]
	v_add_f64_e32 v[10:11], v[155:156], v[30:31]
	;; [unrolled: 1-line block ×6, first 2 shown]
	s_wait_loadcnt 0x0
	v_add_f64_e32 v[64:65], v[8:9], v[95:96]
	v_add_f64_e32 v[95:96], v[213:214], v[105:106]
	;; [unrolled: 1-line block ×4, first 2 shown]
	v_fma_f64 v[70:71], v[52:53], s[18:19], -v[211:212]
	v_add_f64_e32 v[12:13], v[169:170], v[28:29]
	v_fma_f64 v[52:53], v[52:53], s[16:17], -v[62:63]
	v_add_f64_e32 v[62:63], v[187:188], v[97:98]
	v_add_f64_e32 v[97:98], v[6:7], v[149:150]
	v_add_f64_e32 v[6:7], v[173:174], v[26:27]
	v_add_f64_e32 v[28:29], v[179:180], v[64:65]
	v_add_f64_e32 v[64:65], v[195:196], v[101:102]
	v_add_f64_e32 v[93:94], v[34:35], v[105:106]
	v_add_f64_e32 v[60:61], v[183:184], v[95:96]
	v_add_f64_e32 v[95:96], v[4:5], v[151:152]
	v_add_f64_e32 v[99:100], v[137:138], v[8:9]
	v_add_f64_e32 v[34:35], v[109:110], v[68:69]
	v_add_f64_e32 v[0:1], v[141:142], v[12:13]
	v_add_f64_e32 v[12:13], v[84:85], v[46:47]
	v_add_f64_e32 v[8:9], v[133:134], v[44:45]
	v_add_f64_e32 v[20:21], v[185:186], v[62:63]
	v_add_f64_e32 v[48:49], v[52:53], v[56:57]
	v_add_f64_e32 v[16:17], v[97:98], v[251:252]
	v_add_f64_e32 v[46:47], v[115:116], v[82:83]
	v_add_f64_e32 v[4:5], v[177:178], v[28:29]
	v_add_f64_e32 v[26:27], v[86:87], v[64:65]
	v_add_f64_e32 v[28:29], v[70:71], v[93:94]
	v_add_f64_e32 v[22:23], v[181:182], v[60:61]
	v_add_f64_e32 v[18:19], v[95:96], v[253:254]
	v_add_f64_e32 v[44:45], v[117:118], v[99:100]
	ds_store_b128 v255, v[32:35] offset:2736
	ds_store_b128 v255, v[28:31] offset:2752
	;; [unrolled: 1-line block ×13, first 2 shown]
.LBB0_15:
	s_or_b32 exec_lo, exec_lo, s33
	v_add_nc_u16 v0, v78, 26
	v_mov_b32_e32 v79, 0
	v_add_nc_u16 v1, v78, 39
	v_add_nc_u16 v5, v78, 52
	;; [unrolled: 1-line block ×3, first 2 shown]
	v_and_b32_e32 v4, 0xff, v0
	v_add_nc_u16 v10, v78, 0x4e
	v_and_b32_e32 v7, 0xff, v1
	v_and_b32_e32 v11, 0xff, v5
	;; [unrolled: 1-line block ×3, first 2 shown]
	v_mul_lo_u16 v4, 0x4f, v4
	v_and_b32_e32 v13, 0xff, v10
	v_mul_lo_u16 v7, 0x4f, v7
	v_mul_lo_u16 v11, 0x4f, v11
	;; [unrolled: 1-line block ×3, first 2 shown]
	v_lshrrev_b16 v4, 10, v4
	v_mul_lo_u16 v13, 0x4f, v13
	v_lshrrev_b16 v7, 10, v7
	v_lshrrev_b16 v11, 10, v11
	;; [unrolled: 1-line block ×3, first 2 shown]
	v_mul_lo_u16 v4, v4, 13
	v_lshlrev_b64_e32 v[8:9], 4, v[78:79]
	global_wb scope:SCOPE_SE
	s_wait_storecnt_dscnt 0x0
	v_mul_lo_u16 v11, v11, 13
	v_mul_lo_u16 v12, v12, 13
	v_sub_nc_u16 v0, v0, v4
	v_mul_lo_u16 v4, v7, 13
	v_lshrrev_b16 v7, 10, v13
	v_add_co_u32 v2, s1, s8, v8
	s_delay_alu instid0(VALU_DEP_4) | instskip(NEXT) | instid1(VALU_DEP_4)
	v_and_b32_e32 v0, 0xff, v0
	v_sub_nc_u16 v1, v1, v4
	s_delay_alu instid0(VALU_DEP_4)
	v_mul_lo_u16 v4, v7, 13
	v_sub_nc_u16 v5, v5, v11
	s_wait_alu 0xf1ff
	v_add_co_ci_u32_e64 v3, s1, s9, v9, s1
	v_sub_nc_u16 v6, v6, v12
	v_lshlrev_b32_e32 v79, 4, v0
	v_and_b32_e32 v0, 0xff, v1
	v_sub_nc_u16 v1, v10, v4
	v_and_b32_e32 v10, 0xff, v5
	s_barrier_signal -1
	s_barrier_wait -1
	global_inv scope:SCOPE_SE
	v_and_b32_e32 v14, 0xff, v6
	global_load_b128 v[4:7], v[2:3], off
	v_lshlrev_b32_e32 v82, 4, v0
	v_and_b32_e32 v0, 0xff, v1
	v_lshlrev_b32_e32 v83, 4, v10
	global_load_b128 v[10:13], v79, s[8:9]
	v_lshlrev_b32_e32 v84, 4, v14
	global_load_b128 v[14:17], v82, s[8:9]
	v_lshlrev_b32_e32 v85, 4, v0
	s_clause 0x2
	global_load_b128 v[18:21], v83, s[8:9]
	global_load_b128 v[22:25], v84, s[8:9]
	;; [unrolled: 1-line block ×3, first 2 shown]
	ds_load_b128 v[30:33], v89 offset:1456
	ds_load_b128 v[34:37], v89 offset:1664
	;; [unrolled: 1-line block ×8, first 2 shown]
	s_mov_b32 s4, 0x37e14327
	s_mov_b32 s10, 0x36b3c0b5
	;; [unrolled: 1-line block ×13, first 2 shown]
	s_wait_alu 0xfffe
	s_mov_b32 s20, s18
	s_wait_loadcnt_dscnt 0x507
	v_mul_f64_e32 v[0:1], v[32:33], v[6:7]
	v_mul_f64_e32 v[62:63], v[30:31], v[6:7]
	s_wait_dscnt 0x6
	v_mul_f64_e32 v[64:65], v[36:37], v[6:7]
	v_mul_f64_e32 v[6:7], v[34:35], v[6:7]
	s_wait_loadcnt_dscnt 0x405
	v_mul_f64_e32 v[66:67], v[40:41], v[12:13]
	v_mul_f64_e32 v[12:13], v[38:39], v[12:13]
	s_wait_loadcnt_dscnt 0x304
	;; [unrolled: 3-line block ×5, first 2 shown]
	v_mul_f64_e32 v[74:75], v[56:57], v[28:29]
	v_mul_f64_e32 v[28:29], v[54:55], v[28:29]
	v_fma_f64 v[0:1], v[30:31], v[4:5], -v[0:1]
	v_fma_f64 v[32:33], v[32:33], v[4:5], v[62:63]
	v_fma_f64 v[34:35], v[34:35], v[4:5], -v[64:65]
	v_fma_f64 v[36:37], v[36:37], v[4:5], v[6:7]
	;; [unrolled: 2-line block ×7, first 2 shown]
	ds_load_b128 v[4:7], v88
	ds_load_b128 v[10:13], v89 offset:208
	ds_load_b128 v[14:17], v89 offset:416
	;; [unrolled: 1-line block ×5, first 2 shown]
	global_wb scope:SCOPE_SE
	s_wait_dscnt 0x0
	s_barrier_signal -1
	s_barrier_wait -1
	global_inv scope:SCOPE_SE
	v_add3_u32 v62, 0, v82, v90
	v_add3_u32 v63, 0, v83, v90
	;; [unrolled: 1-line block ×4, first 2 shown]
	v_add_f64_e64 v[30:31], v[4:5], -v[0:1]
	v_add_f64_e64 v[32:33], v[6:7], -v[32:33]
	v_add_f64_e64 v[34:35], v[10:11], -v[34:35]
	v_add_f64_e64 v[36:37], v[12:13], -v[36:37]
	v_add_f64_e64 v[38:39], v[14:15], -v[38:39]
	v_add_f64_e64 v[40:41], v[16:17], -v[40:41]
	v_add_f64_e64 v[42:43], v[18:19], -v[42:43]
	v_add_f64_e64 v[44:45], v[20:21], -v[44:45]
	v_add_f64_e64 v[46:47], v[22:23], -v[46:47]
	v_add_f64_e64 v[48:49], v[24:25], -v[48:49]
	v_add_f64_e64 v[50:51], v[26:27], -v[50:51]
	v_add_f64_e64 v[52:53], v[28:29], -v[52:53]
	v_add_f64_e64 v[54:55], v[58:59], -v[54:55]
	v_add_f64_e64 v[56:57], v[60:61], -v[56:57]
	v_mul_u32_u24_e32 v0, 6, v78
	v_add3_u32 v1, 0, v79, v90
	s_delay_alu instid0(VALU_DEP_2)
	v_lshlrev_b32_e32 v0, 4, v0
	v_fma_f64 v[4:5], v[4:5], 2.0, -v[30:31]
	v_fma_f64 v[6:7], v[6:7], 2.0, -v[32:33]
	;; [unrolled: 1-line block ×14, first 2 shown]
	ds_store_b128 v89, v[4:7]
	ds_store_b128 v89, v[30:33] offset:208
	ds_store_b128 v89, v[10:13] offset:416
	ds_store_b128 v89, v[34:37] offset:624
	ds_store_b128 v1, v[14:17] offset:832
	ds_store_b128 v1, v[38:41] offset:1040
	ds_store_b128 v62, v[18:21] offset:1248
	ds_store_b128 v62, v[42:45] offset:1456
	ds_store_b128 v63, v[22:25] offset:1664
	ds_store_b128 v63, v[46:49] offset:1872
	ds_store_b128 v64, v[26:29] offset:2080
	ds_store_b128 v64, v[50:53] offset:2288
	ds_store_b128 v65, v[58:61] offset:2496
	ds_store_b128 v65, v[54:57] offset:2704
	global_wb scope:SCOPE_SE
	s_wait_dscnt 0x0
	s_barrier_signal -1
	s_barrier_wait -1
	global_inv scope:SCOPE_SE
	s_clause 0xb
	global_load_b128 v[4:7], v0, s[8:9] offset:208
	global_load_b128 v[10:13], v0, s[8:9] offset:224
	;; [unrolled: 1-line block ×12, first 2 shown]
	ds_load_b128 v[54:57], v89 offset:416
	ds_load_b128 v[58:61], v89 offset:832
	ds_load_b128 v[62:65], v89 offset:2496
	ds_load_b128 v[66:69], v89 offset:2080
	ds_load_b128 v[70:73], v89 offset:624
	ds_load_b128 v[82:85], v89 offset:1040
	ds_load_b128 v[90:93], v89 offset:2704
	ds_load_b128 v[94:97], v89 offset:2288
	ds_load_b128 v[98:101], v89 offset:1664
	ds_load_b128 v[102:105], v89 offset:1248
	ds_load_b128 v[106:109], v89 offset:1456
	ds_load_b128 v[110:113], v89 offset:1872
	s_wait_loadcnt_dscnt 0xb0b
	v_mul_f64_e32 v[0:1], v[56:57], v[6:7]
	v_mul_f64_e32 v[6:7], v[54:55], v[6:7]
	s_wait_loadcnt_dscnt 0xa0a
	v_mul_f64_e32 v[74:75], v[60:61], v[12:13]
	v_mul_f64_e32 v[12:13], v[58:59], v[12:13]
	;; [unrolled: 3-line block ×9, first 2 shown]
	s_wait_loadcnt 0x2
	v_mul_f64_e32 v[126:127], v[100:101], v[44:45]
	v_mul_f64_e32 v[44:45], v[98:99], v[44:45]
	v_fma_f64 v[0:1], v[54:55], v[4:5], -v[0:1]
	v_fma_f64 v[4:5], v[56:57], v[4:5], v[6:7]
	v_fma_f64 v[6:7], v[58:59], v[10:11], -v[74:75]
	v_fma_f64 v[10:11], v[60:61], v[10:11], v[12:13]
	;; [unrolled: 2-line block ×4, first 2 shown]
	s_wait_loadcnt_dscnt 0x101
	v_mul_f64_e32 v[20:21], v[108:109], v[48:49]
	v_mul_f64_e32 v[48:49], v[106:107], v[48:49]
	s_wait_loadcnt_dscnt 0x0
	v_mul_f64_e32 v[54:55], v[112:113], v[52:53]
	v_mul_f64_e32 v[52:53], v[110:111], v[52:53]
	v_fma_f64 v[56:57], v[70:71], v[22:23], -v[116:117]
	v_fma_f64 v[22:23], v[72:73], v[22:23], v[24:25]
	v_fma_f64 v[24:25], v[82:83], v[26:27], -v[118:119]
	v_fma_f64 v[26:27], v[84:85], v[26:27], v[28:29]
	;; [unrolled: 2-line block ×6, first 2 shown]
	v_add_f64_e32 v[44:45], v[0:1], v[12:13]
	v_add_f64_e32 v[58:59], v[4:5], v[14:15]
	;; [unrolled: 1-line block ×4, first 2 shown]
	v_fma_f64 v[20:21], v[106:107], v[46:47], -v[20:21]
	v_fma_f64 v[46:47], v[108:109], v[46:47], v[48:49]
	v_fma_f64 v[48:49], v[110:111], v[50:51], -v[54:55]
	v_fma_f64 v[50:51], v[112:113], v[50:51], v[52:53]
	v_add_f64_e64 v[16:17], v[6:7], -v[16:17]
	v_add_f64_e64 v[18:19], v[10:11], -v[18:19]
	;; [unrolled: 1-line block ×4, first 2 shown]
	v_add_f64_e32 v[52:53], v[56:57], v[28:29]
	v_add_f64_e32 v[54:55], v[22:23], v[30:31]
	;; [unrolled: 1-line block ×4, first 2 shown]
	v_add_f64_e64 v[24:25], v[24:25], -v[32:33]
	v_add_f64_e64 v[26:27], v[26:27], -v[34:35]
	v_add_f64_e32 v[68:69], v[36:37], v[40:41]
	v_add_f64_e32 v[70:71], v[38:39], v[42:43]
	v_add_f64_e64 v[36:37], v[40:41], -v[36:37]
	v_add_f64_e64 v[38:39], v[42:43], -v[38:39]
	;; [unrolled: 1-line block ×4, first 2 shown]
	v_add_f64_e32 v[4:5], v[60:61], v[44:45]
	v_add_f64_e32 v[6:7], v[62:63], v[58:59]
	;; [unrolled: 1-line block ×4, first 2 shown]
	v_add_f64_e64 v[20:21], v[48:49], -v[20:21]
	v_add_f64_e64 v[32:33], v[50:51], -v[46:47]
	;; [unrolled: 1-line block ×4, first 2 shown]
	v_add_f64_e32 v[30:31], v[64:65], v[52:53]
	v_add_f64_e32 v[34:35], v[66:67], v[54:55]
	v_add_f64_e64 v[40:41], v[44:45], -v[68:69]
	v_add_f64_e64 v[42:43], v[58:59], -v[70:71]
	;; [unrolled: 1-line block ×10, first 2 shown]
	v_add_f64_e32 v[16:17], v[36:37], v[16:17]
	v_add_f64_e32 v[18:19], v[38:39], v[18:19]
	v_add_f64_e64 v[36:37], v[0:1], -v[36:37]
	v_add_f64_e64 v[38:39], v[14:15], -v[38:39]
	v_add_f64_e32 v[68:69], v[68:69], v[4:5]
	v_add_f64_e32 v[70:71], v[70:71], v[6:7]
	v_add_f64_e64 v[82:83], v[52:53], -v[10:11]
	v_add_f64_e64 v[84:85], v[54:55], -v[12:13]
	v_add_f64_e64 v[86:87], v[20:21], -v[24:25]
	v_add_f64_e64 v[90:91], v[32:33], -v[26:27]
	v_add_f64_e64 v[96:97], v[10:11], -v[64:65]
	v_add_f64_e64 v[98:99], v[12:13], -v[66:67]
	v_add_f64_e32 v[24:25], v[20:21], v[24:25]
	v_add_f64_e32 v[26:27], v[32:33], v[26:27]
	;; [unrolled: 1-line block ×4, first 2 shown]
	ds_load_b128 v[4:7], v88
	ds_load_b128 v[10:13], v89 offset:208
	v_mul_f64_e32 v[100:101], s[14:15], v[72:73]
	v_mul_f64_e32 v[40:41], s[4:5], v[40:41]
	;; [unrolled: 1-line block ×8, first 2 shown]
	v_add_f64_e64 v[20:21], v[28:29], -v[20:21]
	v_add_f64_e64 v[32:33], v[22:23], -v[32:33]
	v_mul_f64_e32 v[104:105], s[14:15], v[92:93]
	v_mul_f64_e32 v[106:107], s[14:15], v[94:95]
	v_add_f64_e64 v[52:53], v[64:65], -v[52:53]
	v_add_f64_e64 v[54:55], v[66:67], -v[54:55]
	v_add_f64_e32 v[0:1], v[16:17], v[0:1]
	v_add_f64_e32 v[14:15], v[18:19], v[14:15]
	global_wb scope:SCOPE_SE
	s_wait_dscnt 0x0
	s_barrier_signal -1
	s_barrier_wait -1
	global_inv scope:SCOPE_SE
	v_add_f64_e32 v[4:5], v[4:5], v[68:69]
	v_add_f64_e32 v[6:7], v[6:7], v[70:71]
	v_mul_f64_e32 v[82:83], s[4:5], v[82:83]
	v_mul_f64_e32 v[84:85], s[4:5], v[84:85]
	;; [unrolled: 1-line block ×6, first 2 shown]
	s_mov_b32 s4, 0x5476071b
	s_mov_b32 s5, 0x3fe77f67
	v_add_f64_e32 v[10:11], v[10:11], v[30:31]
	v_add_f64_e32 v[12:13], v[12:13], v[34:35]
	s_mov_b32 s13, 0xbfe77f67
	s_wait_alu 0xfffe
	s_mov_b32 s12, s4
	v_add_f64_e32 v[16:17], v[24:25], v[28:29]
	v_add_f64_e32 v[18:19], v[26:27], v[22:23]
	v_fma_f64 v[22:23], v[46:47], s[10:11], v[40:41]
	v_fma_f64 v[24:25], v[48:49], s[10:11], v[42:43]
	v_fma_f64 v[26:27], v[44:45], s[4:5], -v[60:61]
	v_fma_f64 v[28:29], v[58:59], s[4:5], -v[62:63]
	v_fma_f64 v[46:47], v[36:37], s[18:19], v[50:51]
	v_fma_f64 v[48:49], v[38:39], s[18:19], v[56:57]
	v_fma_f64 v[50:51], v[72:73], s[14:15], -v[50:51]
	v_fma_f64 v[36:37], v[36:37], s[20:21], -v[100:101]
	;; [unrolled: 1-line block ×4, first 2 shown]
	s_wait_alu 0xfffe
	v_fma_f64 v[40:41], v[44:45], s[12:13], -v[40:41]
	v_fma_f64 v[42:43], v[58:59], s[12:13], -v[42:43]
	v_fma_f64 v[60:61], v[68:69], s[16:17], v[4:5]
	v_fma_f64 v[62:63], v[70:71], s[16:17], v[6:7]
	;; [unrolled: 1-line block ×6, first 2 shown]
	v_fma_f64 v[74:75], v[94:95], s[14:15], -v[90:91]
	v_fma_f64 v[72:73], v[92:93], s[14:15], -v[86:87]
	;; [unrolled: 1-line block ×4, first 2 shown]
	v_fma_f64 v[30:31], v[30:31], s[16:17], v[10:11]
	v_fma_f64 v[34:35], v[34:35], s[16:17], v[12:13]
	v_fma_f64 v[82:83], v[52:53], s[12:13], -v[82:83]
	v_fma_f64 v[84:85], v[54:55], s[12:13], -v[84:85]
	;; [unrolled: 1-line block ×4, first 2 shown]
	s_mov_b32 s4, 0x37c3f68c
	s_mov_b32 s5, 0x3fdc38aa
	s_wait_alu 0xfffe
	v_fma_f64 v[46:47], v[0:1], s[4:5], v[46:47]
	v_fma_f64 v[48:49], v[14:15], s[4:5], v[48:49]
	;; [unrolled: 1-line block ×6, first 2 shown]
	v_add_f64_e32 v[38:39], v[22:23], v[60:61]
	v_add_f64_e32 v[64:65], v[24:25], v[62:63]
	;; [unrolled: 1-line block ×6, first 2 shown]
	v_fma_f64 v[60:61], v[16:17], s[4:5], v[68:69]
	v_fma_f64 v[62:63], v[18:19], s[4:5], v[70:71]
	;; [unrolled: 1-line block ×6, first 2 shown]
	v_add_f64_e32 v[74:75], v[44:45], v[30:31]
	v_add_f64_e32 v[86:87], v[58:59], v[34:35]
	v_add_f64_e32 v[58:59], v[82:83], v[30:31]
	v_add_f64_e32 v[82:83], v[84:85], v[34:35]
	v_add_f64_e32 v[52:53], v[52:53], v[30:31]
	v_add_f64_e32 v[54:55], v[54:55], v[34:35]
	v_add_f64_e32 v[14:15], v[48:49], v[38:39]
	v_add_f64_e64 v[16:17], v[64:65], -v[46:47]
	v_add_f64_e32 v[18:19], v[36:37], v[40:41]
	v_add_f64_e64 v[30:31], v[40:41], -v[36:37]
	v_add_f64_e64 v[34:35], v[38:39], -v[48:49]
	;; [unrolled: 1-line block ×3, first 2 shown]
	v_add_f64_e32 v[32:33], v[0:1], v[42:43]
	v_add_f64_e64 v[22:23], v[26:27], -v[56:57]
	v_add_f64_e32 v[24:25], v[50:51], v[28:29]
	v_add_f64_e32 v[36:37], v[46:47], v[64:65]
	;; [unrolled: 1-line block ×3, first 2 shown]
	v_add_f64_e64 v[28:29], v[28:29], -v[50:51]
	v_add_f64_e32 v[38:39], v[62:63], v[74:75]
	v_add_f64_e64 v[40:41], v[86:87], -v[60:61]
	v_add_f64_e32 v[42:43], v[72:73], v[58:59]
	v_add_f64_e64 v[44:45], v[82:83], -v[70:71]
	v_add_f64_e64 v[46:47], v[52:53], -v[68:69]
	v_add_f64_e32 v[48:49], v[66:67], v[54:55]
	v_add_f64_e32 v[50:51], v[68:69], v[52:53]
	v_add_f64_e64 v[52:53], v[54:55], -v[66:67]
	v_add_f64_e64 v[54:55], v[58:59], -v[72:73]
	v_add_f64_e32 v[56:57], v[70:71], v[82:83]
	v_add_f64_e64 v[58:59], v[74:75], -v[62:63]
	v_add_f64_e32 v[60:61], v[60:61], v[86:87]
	ds_store_b128 v89, v[4:7]
	ds_store_b128 v89, v[10:13] offset:208
	ds_store_b128 v89, v[14:17] offset:416
	;; [unrolled: 1-line block ×13, first 2 shown]
	global_wb scope:SCOPE_SE
	s_wait_dscnt 0x0
	s_barrier_signal -1
	s_barrier_wait -1
	global_inv scope:SCOPE_SE
	scratch_load_b32 v0, off, off th:TH_LOAD_LU ; 4-byte Folded Reload
	ds_load_b128 v[4:7], v88
                                        ; implicit-def: $vgpr10_vgpr11
                                        ; implicit-def: $vgpr12_vgpr13
	s_wait_loadcnt 0x0
	v_sub_nc_u32_e32 v14, v255, v0
                                        ; implicit-def: $vgpr0_vgpr1
	s_and_saveexec_b32 s1, s0
	s_wait_alu 0xfffe
	s_xor_b32 s0, exec_lo, s1
	s_cbranch_execz .LBB0_17
; %bb.16:
	global_load_b128 v[15:18], v[2:3], off offset:2704
	ds_load_b128 v[0:3], v14 offset:2912
	s_wait_dscnt 0x0
	v_add_f64_e64 v[10:11], v[4:5], -v[0:1]
	v_add_f64_e32 v[12:13], v[6:7], v[2:3]
	v_add_f64_e64 v[2:3], v[6:7], -v[2:3]
	v_add_f64_e32 v[0:1], v[4:5], v[0:1]
	s_delay_alu instid0(VALU_DEP_4) | instskip(NEXT) | instid1(VALU_DEP_4)
	v_mul_f64_e32 v[6:7], 0.5, v[10:11]
	v_mul_f64_e32 v[4:5], 0.5, v[12:13]
	s_delay_alu instid0(VALU_DEP_4) | instskip(SKIP_1) | instid1(VALU_DEP_3)
	v_mul_f64_e32 v[2:3], 0.5, v[2:3]
	s_wait_loadcnt 0x0
	v_mul_f64_e32 v[10:11], v[6:7], v[17:18]
	s_delay_alu instid0(VALU_DEP_2) | instskip(SKIP_1) | instid1(VALU_DEP_3)
	v_fma_f64 v[12:13], v[4:5], v[17:18], v[2:3]
	v_fma_f64 v[2:3], v[4:5], v[17:18], -v[2:3]
	v_fma_f64 v[19:20], v[0:1], 0.5, v[10:11]
	v_fma_f64 v[0:1], v[0:1], 0.5, -v[10:11]
	s_delay_alu instid0(VALU_DEP_4) | instskip(NEXT) | instid1(VALU_DEP_4)
	v_fma_f64 v[12:13], -v[15:16], v[6:7], v[12:13]
	v_fma_f64 v[2:3], -v[15:16], v[6:7], v[2:3]
	s_delay_alu instid0(VALU_DEP_4) | instskip(NEXT) | instid1(VALU_DEP_4)
	v_fma_f64 v[10:11], v[4:5], v[15:16], v[19:20]
	v_fma_f64 v[0:1], -v[4:5], v[15:16], v[0:1]
                                        ; implicit-def: $vgpr4_vgpr5
.LBB0_17:
	s_wait_alu 0xfffe
	s_and_not1_saveexec_b32 s0, s0
	s_cbranch_execz .LBB0_19
; %bb.18:
	s_wait_dscnt 0x0
	v_add_f64_e32 v[10:11], v[4:5], v[6:7]
	v_add_f64_e64 v[0:1], v[4:5], -v[6:7]
	ds_load_b64 v[4:5], v255 offset:1464
	v_mov_b32_e32 v12, 0
	v_mov_b32_e32 v13, 0
	s_delay_alu instid0(VALU_DEP_1)
	v_dual_mov_b32 v2, v12 :: v_dual_mov_b32 v3, v13
	s_wait_dscnt 0x0
	v_xor_b32_e32 v5, 0x80000000, v5
	ds_store_b64 v255, v[4:5] offset:1464
.LBB0_19:
	s_wait_alu 0xfffe
	s_or_b32 exec_lo, exec_lo, s0
	s_add_nc_u64 s[0:1], s[8:9], 0xa90
	s_wait_alu 0xfffe
	v_add_co_u32 v19, s0, s0, v8
	s_wait_alu 0xf1ff
	v_add_co_ci_u32_e64 v20, s0, s1, v9, s0
	s_wait_dscnt 0x0
	s_clause 0x1
	global_load_b128 v[4:7], v[19:20], off offset:208
	global_load_b128 v[15:18], v[19:20], off offset:416
	ds_store_2addr_b64 v88, v[10:11], v[12:13] offset1:1
	ds_store_b128 v14, v[0:3] offset:2912
	ds_load_b128 v[0:3], v88 offset:208
	ds_load_b128 v[8:11], v14 offset:2704
	s_wait_dscnt 0x0
	v_add_f64_e64 v[12:13], v[0:1], -v[8:9]
	v_add_f64_e32 v[21:22], v[2:3], v[10:11]
	v_add_f64_e64 v[2:3], v[2:3], -v[10:11]
	v_add_f64_e32 v[0:1], v[0:1], v[8:9]
	s_delay_alu instid0(VALU_DEP_4) | instskip(NEXT) | instid1(VALU_DEP_4)
	v_mul_f64_e32 v[10:11], 0.5, v[12:13]
	v_mul_f64_e32 v[12:13], 0.5, v[21:22]
	s_delay_alu instid0(VALU_DEP_4) | instskip(SKIP_1) | instid1(VALU_DEP_3)
	v_mul_f64_e32 v[2:3], 0.5, v[2:3]
	s_wait_loadcnt 0x1
	v_mul_f64_e32 v[8:9], v[10:11], v[6:7]
	s_delay_alu instid0(VALU_DEP_2) | instskip(SKIP_1) | instid1(VALU_DEP_3)
	v_fma_f64 v[21:22], v[12:13], v[6:7], v[2:3]
	v_fma_f64 v[2:3], v[12:13], v[6:7], -v[2:3]
	v_fma_f64 v[6:7], v[0:1], 0.5, v[8:9]
	v_fma_f64 v[0:1], v[0:1], 0.5, -v[8:9]
	s_delay_alu instid0(VALU_DEP_4) | instskip(NEXT) | instid1(VALU_DEP_4)
	v_fma_f64 v[8:9], -v[4:5], v[10:11], v[21:22]
	v_fma_f64 v[2:3], -v[4:5], v[10:11], v[2:3]
	s_delay_alu instid0(VALU_DEP_4) | instskip(NEXT) | instid1(VALU_DEP_4)
	v_fma_f64 v[10:11], v[12:13], v[4:5], v[6:7]
	v_fma_f64 v[0:1], -v[12:13], v[4:5], v[0:1]
	global_load_b128 v[4:7], v[19:20], off offset:624
	ds_store_2addr_b64 v88, v[10:11], v[8:9] offset0:26 offset1:27
	ds_store_b128 v14, v[0:3] offset:2704
	ds_load_b128 v[0:3], v88 offset:416
	ds_load_b128 v[8:11], v14 offset:2496
	s_wait_dscnt 0x0
	v_add_f64_e64 v[12:13], v[0:1], -v[8:9]
	v_add_f64_e32 v[21:22], v[2:3], v[10:11]
	v_add_f64_e64 v[2:3], v[2:3], -v[10:11]
	v_add_f64_e32 v[0:1], v[0:1], v[8:9]
	s_delay_alu instid0(VALU_DEP_4) | instskip(NEXT) | instid1(VALU_DEP_4)
	v_mul_f64_e32 v[10:11], 0.5, v[12:13]
	v_mul_f64_e32 v[12:13], 0.5, v[21:22]
	s_delay_alu instid0(VALU_DEP_4) | instskip(SKIP_1) | instid1(VALU_DEP_3)
	v_mul_f64_e32 v[2:3], 0.5, v[2:3]
	s_wait_loadcnt 0x1
	v_mul_f64_e32 v[8:9], v[10:11], v[17:18]
	s_delay_alu instid0(VALU_DEP_2) | instskip(SKIP_1) | instid1(VALU_DEP_3)
	v_fma_f64 v[21:22], v[12:13], v[17:18], v[2:3]
	v_fma_f64 v[2:3], v[12:13], v[17:18], -v[2:3]
	v_fma_f64 v[17:18], v[0:1], 0.5, v[8:9]
	v_fma_f64 v[0:1], v[0:1], 0.5, -v[8:9]
	s_delay_alu instid0(VALU_DEP_4) | instskip(NEXT) | instid1(VALU_DEP_4)
	v_fma_f64 v[21:22], -v[15:16], v[10:11], v[21:22]
	v_fma_f64 v[2:3], -v[15:16], v[10:11], v[2:3]
	global_load_b128 v[8:11], v[19:20], off offset:832
	v_fma_f64 v[17:18], v[12:13], v[15:16], v[17:18]
	v_fma_f64 v[0:1], -v[12:13], v[15:16], v[0:1]
	ds_store_2addr_b64 v88, v[17:18], v[21:22] offset0:52 offset1:53
	ds_store_b128 v14, v[0:3] offset:2496
	ds_load_b128 v[0:3], v88 offset:624
	ds_load_b128 v[15:18], v14 offset:2288
	s_wait_dscnt 0x0
	v_add_f64_e64 v[12:13], v[0:1], -v[15:16]
	v_add_f64_e32 v[21:22], v[2:3], v[17:18]
	v_add_f64_e64 v[2:3], v[2:3], -v[17:18]
	v_add_f64_e32 v[0:1], v[0:1], v[15:16]
	s_delay_alu instid0(VALU_DEP_4) | instskip(NEXT) | instid1(VALU_DEP_4)
	v_mul_f64_e32 v[12:13], 0.5, v[12:13]
	v_mul_f64_e32 v[17:18], 0.5, v[21:22]
	s_delay_alu instid0(VALU_DEP_4) | instskip(SKIP_1) | instid1(VALU_DEP_3)
	v_mul_f64_e32 v[2:3], 0.5, v[2:3]
	s_wait_loadcnt 0x1
	v_mul_f64_e32 v[15:16], v[12:13], v[6:7]
	s_delay_alu instid0(VALU_DEP_2) | instskip(SKIP_1) | instid1(VALU_DEP_3)
	v_fma_f64 v[21:22], v[17:18], v[6:7], v[2:3]
	v_fma_f64 v[2:3], v[17:18], v[6:7], -v[2:3]
	v_fma_f64 v[6:7], v[0:1], 0.5, v[15:16]
	v_fma_f64 v[0:1], v[0:1], 0.5, -v[15:16]
	s_delay_alu instid0(VALU_DEP_4) | instskip(NEXT) | instid1(VALU_DEP_4)
	v_fma_f64 v[15:16], -v[4:5], v[12:13], v[21:22]
	v_fma_f64 v[2:3], -v[4:5], v[12:13], v[2:3]
	s_delay_alu instid0(VALU_DEP_4) | instskip(NEXT) | instid1(VALU_DEP_4)
	v_fma_f64 v[12:13], v[17:18], v[4:5], v[6:7]
	v_fma_f64 v[0:1], -v[17:18], v[4:5], v[0:1]
	global_load_b128 v[4:7], v[19:20], off offset:1040
	ds_store_2addr_b64 v88, v[12:13], v[15:16] offset0:78 offset1:79
	ds_store_b128 v14, v[0:3] offset:2288
	ds_load_b128 v[0:3], v88 offset:832
	ds_load_b128 v[15:18], v14 offset:2080
	s_wait_dscnt 0x0
	v_add_f64_e64 v[12:13], v[0:1], -v[15:16]
	v_add_f64_e32 v[21:22], v[2:3], v[17:18]
	v_add_f64_e64 v[2:3], v[2:3], -v[17:18]
	v_add_f64_e32 v[0:1], v[0:1], v[15:16]
	s_delay_alu instid0(VALU_DEP_4) | instskip(NEXT) | instid1(VALU_DEP_4)
	v_mul_f64_e32 v[12:13], 0.5, v[12:13]
	v_mul_f64_e32 v[17:18], 0.5, v[21:22]
	s_delay_alu instid0(VALU_DEP_4) | instskip(SKIP_1) | instid1(VALU_DEP_3)
	v_mul_f64_e32 v[2:3], 0.5, v[2:3]
	s_wait_loadcnt 0x1
	v_mul_f64_e32 v[15:16], v[12:13], v[10:11]
	s_delay_alu instid0(VALU_DEP_2) | instskip(SKIP_1) | instid1(VALU_DEP_3)
	v_fma_f64 v[21:22], v[17:18], v[10:11], v[2:3]
	v_fma_f64 v[2:3], v[17:18], v[10:11], -v[2:3]
	v_fma_f64 v[10:11], v[0:1], 0.5, v[15:16]
	v_fma_f64 v[0:1], v[0:1], 0.5, -v[15:16]
	s_delay_alu instid0(VALU_DEP_4) | instskip(NEXT) | instid1(VALU_DEP_4)
	v_fma_f64 v[15:16], -v[8:9], v[12:13], v[21:22]
	v_fma_f64 v[2:3], -v[8:9], v[12:13], v[2:3]
	s_delay_alu instid0(VALU_DEP_4) | instskip(NEXT) | instid1(VALU_DEP_4)
	v_fma_f64 v[12:13], v[17:18], v[8:9], v[10:11]
	v_fma_f64 v[0:1], -v[17:18], v[8:9], v[0:1]
	global_load_b128 v[8:11], v[19:20], off offset:1248
	ds_store_2addr_b64 v88, v[12:13], v[15:16] offset0:104 offset1:105
	ds_store_b128 v14, v[0:3] offset:2080
	ds_load_b128 v[0:3], v88 offset:1040
	ds_load_b128 v[15:18], v14 offset:1872
	s_wait_dscnt 0x0
	v_add_f64_e64 v[12:13], v[0:1], -v[15:16]
	v_add_f64_e32 v[19:20], v[2:3], v[17:18]
	v_add_f64_e64 v[2:3], v[2:3], -v[17:18]
	v_add_f64_e32 v[0:1], v[0:1], v[15:16]
	s_delay_alu instid0(VALU_DEP_4) | instskip(NEXT) | instid1(VALU_DEP_4)
	v_mul_f64_e32 v[12:13], 0.5, v[12:13]
	v_mul_f64_e32 v[17:18], 0.5, v[19:20]
	s_delay_alu instid0(VALU_DEP_4) | instskip(SKIP_1) | instid1(VALU_DEP_3)
	v_mul_f64_e32 v[2:3], 0.5, v[2:3]
	s_wait_loadcnt 0x1
	v_mul_f64_e32 v[15:16], v[12:13], v[6:7]
	s_delay_alu instid0(VALU_DEP_2) | instskip(SKIP_1) | instid1(VALU_DEP_3)
	v_fma_f64 v[19:20], v[17:18], v[6:7], v[2:3]
	v_fma_f64 v[2:3], v[17:18], v[6:7], -v[2:3]
	v_fma_f64 v[6:7], v[0:1], 0.5, v[15:16]
	v_fma_f64 v[0:1], v[0:1], 0.5, -v[15:16]
	s_delay_alu instid0(VALU_DEP_4) | instskip(NEXT) | instid1(VALU_DEP_4)
	v_fma_f64 v[15:16], -v[4:5], v[12:13], v[19:20]
	v_fma_f64 v[2:3], -v[4:5], v[12:13], v[2:3]
	s_delay_alu instid0(VALU_DEP_4) | instskip(NEXT) | instid1(VALU_DEP_4)
	v_fma_f64 v[6:7], v[17:18], v[4:5], v[6:7]
	v_fma_f64 v[0:1], -v[17:18], v[4:5], v[0:1]
	ds_store_2addr_b64 v88, v[6:7], v[15:16] offset0:130 offset1:131
	ds_store_b128 v14, v[0:3] offset:1872
	ds_load_b128 v[0:3], v88 offset:1248
	ds_load_b128 v[4:7], v14 offset:1664
	s_wait_dscnt 0x0
	v_add_f64_e64 v[12:13], v[0:1], -v[4:5]
	v_add_f64_e32 v[15:16], v[2:3], v[6:7]
	v_add_f64_e64 v[2:3], v[2:3], -v[6:7]
	v_add_f64_e32 v[0:1], v[0:1], v[4:5]
	s_delay_alu instid0(VALU_DEP_4) | instskip(NEXT) | instid1(VALU_DEP_4)
	v_mul_f64_e32 v[6:7], 0.5, v[12:13]
	v_mul_f64_e32 v[12:13], 0.5, v[15:16]
	s_delay_alu instid0(VALU_DEP_4) | instskip(SKIP_1) | instid1(VALU_DEP_3)
	v_mul_f64_e32 v[2:3], 0.5, v[2:3]
	s_wait_loadcnt 0x0
	v_mul_f64_e32 v[4:5], v[6:7], v[10:11]
	s_delay_alu instid0(VALU_DEP_2) | instskip(SKIP_1) | instid1(VALU_DEP_3)
	v_fma_f64 v[15:16], v[12:13], v[10:11], v[2:3]
	v_fma_f64 v[2:3], v[12:13], v[10:11], -v[2:3]
	v_fma_f64 v[10:11], v[0:1], 0.5, v[4:5]
	v_fma_f64 v[0:1], v[0:1], 0.5, -v[4:5]
	s_delay_alu instid0(VALU_DEP_4) | instskip(NEXT) | instid1(VALU_DEP_4)
	v_fma_f64 v[4:5], -v[8:9], v[6:7], v[15:16]
	v_fma_f64 v[2:3], -v[8:9], v[6:7], v[2:3]
	s_delay_alu instid0(VALU_DEP_4) | instskip(NEXT) | instid1(VALU_DEP_4)
	v_fma_f64 v[6:7], v[12:13], v[8:9], v[10:11]
	v_fma_f64 v[0:1], -v[12:13], v[8:9], v[0:1]
	ds_store_2addr_b64 v88, v[6:7], v[4:5] offset0:156 offset1:157
	ds_store_b128 v14, v[0:3] offset:1664
	global_wb scope:SCOPE_SE
	s_wait_dscnt 0x0
	s_barrier_signal -1
	s_barrier_wait -1
	global_inv scope:SCOPE_SE
	s_and_saveexec_b32 s0, vcc_lo
	s_cbranch_execz .LBB0_22
; %bb.20:
	v_mul_lo_u32 v2, s3, v80
	v_mul_lo_u32 v3, s2, v81
	v_mad_co_u64_u32 v[0:1], null, s2, v80, 0
	v_mov_b32_e32 v79, 0
	v_lshlrev_b64_e32 v[11:12], 4, v[76:77]
	v_add_nc_u32_e32 v13, 13, v78
	v_add_nc_u32_e32 v25, 0x41, v78
	s_delay_alu instid0(VALU_DEP_4)
	v_dual_mov_b32 v28, v79 :: v_dual_add_nc_u32 v27, 0x4e, v78
	v_add3_u32 v1, v1, v3, v2
	v_lshl_add_u32 v2, v78, 4, v255
	v_mov_b32_e32 v14, v79
	ds_load_b128 v[3:6], v2
	ds_load_b128 v[7:10], v2 offset:208
	v_lshlrev_b64_e32 v[0:1], 4, v[0:1]
	v_lshlrev_b64_e32 v[15:16], 4, v[78:79]
	v_mov_b32_e32 v26, v79
	s_delay_alu instid0(VALU_DEP_3) | instskip(SKIP_1) | instid1(VALU_DEP_4)
	v_add_co_u32 v0, vcc_lo, s6, v0
	s_wait_alu 0xfffd
	v_add_co_ci_u32_e32 v1, vcc_lo, s7, v1, vcc_lo
	s_delay_alu instid0(VALU_DEP_3) | instskip(NEXT) | instid1(VALU_DEP_3)
	v_lshlrev_b64_e32 v[25:26], 4, v[25:26]
	v_add_co_u32 v0, vcc_lo, v0, v11
	s_wait_alu 0xfffd
	s_delay_alu instid0(VALU_DEP_3) | instskip(SKIP_1) | instid1(VALU_DEP_3)
	v_add_co_ci_u32_e32 v1, vcc_lo, v1, v12, vcc_lo
	v_lshlrev_b64_e32 v[11:12], 4, v[13:14]
	v_add_co_u32 v13, vcc_lo, v0, v15
	s_wait_alu 0xfffd
	s_delay_alu instid0(VALU_DEP_3) | instskip(SKIP_1) | instid1(VALU_DEP_4)
	v_add_co_ci_u32_e32 v14, vcc_lo, v1, v16, vcc_lo
	v_dual_mov_b32 v16, v79 :: v_dual_add_nc_u32 v15, 26, v78
	v_add_co_u32 v11, vcc_lo, v0, v11
	s_wait_alu 0xfffd
	v_add_co_ci_u32_e32 v12, vcc_lo, v1, v12, vcc_lo
	s_wait_dscnt 0x1
	global_store_b128 v[13:14], v[3:6], off
	s_wait_dscnt 0x0
	global_store_b128 v[11:12], v[7:10], off
	v_lshlrev_b64_e32 v[3:4], 4, v[15:16]
	v_dual_mov_b32 v12, v79 :: v_dual_add_nc_u32 v11, 39, v78
	v_dual_mov_b32 v14, v79 :: v_dual_add_nc_u32 v13, 52, v78
	s_delay_alu instid0(VALU_DEP_3) | instskip(SKIP_1) | instid1(VALU_DEP_4)
	v_add_co_u32 v19, vcc_lo, v0, v3
	s_wait_alu 0xfffd
	v_add_co_ci_u32_e32 v20, vcc_lo, v1, v4, vcc_lo
	ds_load_b128 v[3:6], v2 offset:416
	ds_load_b128 v[7:10], v2 offset:624
	v_lshlrev_b64_e32 v[21:22], 4, v[11:12]
	v_lshlrev_b64_e32 v[23:24], 4, v[13:14]
	ds_load_b128 v[11:14], v2 offset:832
	ds_load_b128 v[15:18], v2 offset:1040
	v_add_co_u32 v21, vcc_lo, v0, v21
	s_wait_alu 0xfffd
	v_add_co_ci_u32_e32 v22, vcc_lo, v1, v22, vcc_lo
	v_add_co_u32 v23, vcc_lo, v0, v23
	s_wait_alu 0xfffd
	v_add_co_ci_u32_e32 v24, vcc_lo, v1, v24, vcc_lo
	;; [unrolled: 3-line block ×3, first 2 shown]
	s_wait_dscnt 0x3
	global_store_b128 v[19:20], v[3:6], off
	s_wait_dscnt 0x2
	global_store_b128 v[21:22], v[7:10], off
	;; [unrolled: 2-line block ×4, first 2 shown]
	v_lshlrev_b64_e32 v[3:4], 4, v[27:28]
	v_dual_mov_b32 v12, v79 :: v_dual_add_nc_u32 v11, 0x5b, v78
	v_dual_mov_b32 v14, v79 :: v_dual_add_nc_u32 v13, 0x68, v78
	;; [unrolled: 1-line block ×3, first 2 shown]
	s_delay_alu instid0(VALU_DEP_4)
	v_add_co_u32 v19, vcc_lo, v0, v3
	s_wait_alu 0xfffd
	v_add_co_ci_u32_e32 v20, vcc_lo, v1, v4, vcc_lo
	ds_load_b128 v[3:6], v2 offset:1248
	ds_load_b128 v[7:10], v2 offset:1456
	v_lshlrev_b64_e32 v[21:22], 4, v[11:12]
	v_lshlrev_b64_e32 v[23:24], 4, v[13:14]
	ds_load_b128 v[11:14], v2 offset:1664
	ds_load_b128 v[15:18], v2 offset:1872
	v_lshlrev_b64_e32 v[25:26], 4, v[25:26]
	v_add_nc_u32_e32 v27, 0x82, v78
	v_add_co_u32 v21, vcc_lo, v0, v21
	s_wait_alu 0xfffd
	v_add_co_ci_u32_e32 v22, vcc_lo, v1, v22, vcc_lo
	v_add_co_u32 v23, vcc_lo, v0, v23
	s_wait_alu 0xfffd
	v_add_co_ci_u32_e32 v24, vcc_lo, v1, v24, vcc_lo
	;; [unrolled: 3-line block ×3, first 2 shown]
	s_wait_dscnt 0x3
	global_store_b128 v[19:20], v[3:6], off
	s_wait_dscnt 0x2
	global_store_b128 v[21:22], v[7:10], off
	;; [unrolled: 2-line block ×4, first 2 shown]
	v_mov_b32_e32 v12, v79
	v_lshlrev_b64_e32 v[3:4], 4, v[27:28]
	v_dual_mov_b32 v14, v79 :: v_dual_add_nc_u32 v11, 0x8f, v78
	v_dual_mov_b32 v26, v79 :: v_dual_add_nc_u32 v13, 0x9c, v78
	v_add_nc_u32_e32 v25, 0xa9, v78
	s_delay_alu instid0(VALU_DEP_4)
	v_add_co_u32 v19, vcc_lo, v0, v3
	s_wait_alu 0xfffd
	v_add_co_ci_u32_e32 v20, vcc_lo, v1, v4, vcc_lo
	ds_load_b128 v[3:6], v2 offset:2080
	ds_load_b128 v[7:10], v2 offset:2288
	v_lshlrev_b64_e32 v[21:22], 4, v[11:12]
	v_lshlrev_b64_e32 v[23:24], 4, v[13:14]
	ds_load_b128 v[11:14], v2 offset:2496
	ds_load_b128 v[15:18], v2 offset:2704
	v_lshlrev_b64_e32 v[25:26], 4, v[25:26]
	v_add_co_u32 v21, vcc_lo, v0, v21
	s_wait_alu 0xfffd
	v_add_co_ci_u32_e32 v22, vcc_lo, v1, v22, vcc_lo
	v_add_co_u32 v23, vcc_lo, v0, v23
	s_wait_alu 0xfffd
	v_add_co_ci_u32_e32 v24, vcc_lo, v1, v24, vcc_lo
	;; [unrolled: 3-line block ×3, first 2 shown]
	v_cmp_eq_u32_e32 vcc_lo, 12, v78
	s_wait_dscnt 0x3
	global_store_b128 v[19:20], v[3:6], off
	s_wait_dscnt 0x2
	global_store_b128 v[21:22], v[7:10], off
	;; [unrolled: 2-line block ×4, first 2 shown]
	s_and_b32 exec_lo, exec_lo, vcc_lo
	s_cbranch_execz .LBB0_22
; %bb.21:
	ds_load_b128 v[2:5], v2 offset:2720
	s_wait_dscnt 0x0
	global_store_b128 v[0:1], v[2:5], off offset:2912
.LBB0_22:
	s_nop 0
	s_sendmsg sendmsg(MSG_DEALLOC_VGPRS)
	s_endpgm
	.section	.rodata,"a",@progbits
	.p2align	6, 0x0
	.amdhsa_kernel fft_rtc_fwd_len182_factors_13_2_7_wgs_52_tpt_13_dp_op_CI_CI_unitstride_sbrr_R2C_dirReg
		.amdhsa_group_segment_fixed_size 0
		.amdhsa_private_segment_fixed_size 88
		.amdhsa_kernarg_size 104
		.amdhsa_user_sgpr_count 2
		.amdhsa_user_sgpr_dispatch_ptr 0
		.amdhsa_user_sgpr_queue_ptr 0
		.amdhsa_user_sgpr_kernarg_segment_ptr 1
		.amdhsa_user_sgpr_dispatch_id 0
		.amdhsa_user_sgpr_private_segment_size 0
		.amdhsa_wavefront_size32 1
		.amdhsa_uses_dynamic_stack 0
		.amdhsa_enable_private_segment 1
		.amdhsa_system_sgpr_workgroup_id_x 1
		.amdhsa_system_sgpr_workgroup_id_y 0
		.amdhsa_system_sgpr_workgroup_id_z 0
		.amdhsa_system_sgpr_workgroup_info 0
		.amdhsa_system_vgpr_workitem_id 0
		.amdhsa_next_free_vgpr 256
		.amdhsa_next_free_sgpr 46
		.amdhsa_reserve_vcc 1
		.amdhsa_float_round_mode_32 0
		.amdhsa_float_round_mode_16_64 0
		.amdhsa_float_denorm_mode_32 3
		.amdhsa_float_denorm_mode_16_64 3
		.amdhsa_fp16_overflow 0
		.amdhsa_workgroup_processor_mode 1
		.amdhsa_memory_ordered 1
		.amdhsa_forward_progress 0
		.amdhsa_round_robin_scheduling 0
		.amdhsa_exception_fp_ieee_invalid_op 0
		.amdhsa_exception_fp_denorm_src 0
		.amdhsa_exception_fp_ieee_div_zero 0
		.amdhsa_exception_fp_ieee_overflow 0
		.amdhsa_exception_fp_ieee_underflow 0
		.amdhsa_exception_fp_ieee_inexact 0
		.amdhsa_exception_int_div_zero 0
	.end_amdhsa_kernel
	.text
.Lfunc_end0:
	.size	fft_rtc_fwd_len182_factors_13_2_7_wgs_52_tpt_13_dp_op_CI_CI_unitstride_sbrr_R2C_dirReg, .Lfunc_end0-fft_rtc_fwd_len182_factors_13_2_7_wgs_52_tpt_13_dp_op_CI_CI_unitstride_sbrr_R2C_dirReg
                                        ; -- End function
	.section	.AMDGPU.csdata,"",@progbits
; Kernel info:
; codeLenInByte = 13004
; NumSgprs: 48
; NumVgprs: 256
; ScratchSize: 88
; MemoryBound: 0
; FloatMode: 240
; IeeeMode: 1
; LDSByteSize: 0 bytes/workgroup (compile time only)
; SGPRBlocks: 5
; VGPRBlocks: 31
; NumSGPRsForWavesPerEU: 48
; NumVGPRsForWavesPerEU: 256
; Occupancy: 5
; WaveLimiterHint : 1
; COMPUTE_PGM_RSRC2:SCRATCH_EN: 1
; COMPUTE_PGM_RSRC2:USER_SGPR: 2
; COMPUTE_PGM_RSRC2:TRAP_HANDLER: 0
; COMPUTE_PGM_RSRC2:TGID_X_EN: 1
; COMPUTE_PGM_RSRC2:TGID_Y_EN: 0
; COMPUTE_PGM_RSRC2:TGID_Z_EN: 0
; COMPUTE_PGM_RSRC2:TIDIG_COMP_CNT: 0
	.text
	.p2alignl 7, 3214868480
	.fill 96, 4, 3214868480
	.type	__hip_cuid_b26205ec06f3f1f7,@object ; @__hip_cuid_b26205ec06f3f1f7
	.section	.bss,"aw",@nobits
	.globl	__hip_cuid_b26205ec06f3f1f7
__hip_cuid_b26205ec06f3f1f7:
	.byte	0                               ; 0x0
	.size	__hip_cuid_b26205ec06f3f1f7, 1

	.ident	"AMD clang version 19.0.0git (https://github.com/RadeonOpenCompute/llvm-project roc-6.4.0 25133 c7fe45cf4b819c5991fe208aaa96edf142730f1d)"
	.section	".note.GNU-stack","",@progbits
	.addrsig
	.addrsig_sym __hip_cuid_b26205ec06f3f1f7
	.amdgpu_metadata
---
amdhsa.kernels:
  - .args:
      - .actual_access:  read_only
        .address_space:  global
        .offset:         0
        .size:           8
        .value_kind:     global_buffer
      - .offset:         8
        .size:           8
        .value_kind:     by_value
      - .actual_access:  read_only
        .address_space:  global
        .offset:         16
        .size:           8
        .value_kind:     global_buffer
      - .actual_access:  read_only
        .address_space:  global
        .offset:         24
        .size:           8
        .value_kind:     global_buffer
      - .actual_access:  read_only
        .address_space:  global
        .offset:         32
        .size:           8
        .value_kind:     global_buffer
      - .offset:         40
        .size:           8
        .value_kind:     by_value
      - .actual_access:  read_only
        .address_space:  global
        .offset:         48
        .size:           8
        .value_kind:     global_buffer
      - .actual_access:  read_only
        .address_space:  global
        .offset:         56
        .size:           8
        .value_kind:     global_buffer
      - .offset:         64
        .size:           4
        .value_kind:     by_value
      - .actual_access:  read_only
        .address_space:  global
        .offset:         72
        .size:           8
        .value_kind:     global_buffer
      - .actual_access:  read_only
        .address_space:  global
        .offset:         80
        .size:           8
        .value_kind:     global_buffer
      - .actual_access:  read_only
        .address_space:  global
        .offset:         88
        .size:           8
        .value_kind:     global_buffer
      - .actual_access:  write_only
        .address_space:  global
        .offset:         96
        .size:           8
        .value_kind:     global_buffer
    .group_segment_fixed_size: 0
    .kernarg_segment_align: 8
    .kernarg_segment_size: 104
    .language:       OpenCL C
    .language_version:
      - 2
      - 0
    .max_flat_workgroup_size: 52
    .name:           fft_rtc_fwd_len182_factors_13_2_7_wgs_52_tpt_13_dp_op_CI_CI_unitstride_sbrr_R2C_dirReg
    .private_segment_fixed_size: 88
    .sgpr_count:     48
    .sgpr_spill_count: 0
    .symbol:         fft_rtc_fwd_len182_factors_13_2_7_wgs_52_tpt_13_dp_op_CI_CI_unitstride_sbrr_R2C_dirReg.kd
    .uniform_work_group_size: 1
    .uses_dynamic_stack: false
    .vgpr_count:     256
    .vgpr_spill_count: 27
    .wavefront_size: 32
    .workgroup_processor_mode: 1
amdhsa.target:   amdgcn-amd-amdhsa--gfx1201
amdhsa.version:
  - 1
  - 2
...

	.end_amdgpu_metadata
